;; amdgpu-corpus repo=ROCm/rocFFT kind=compiled arch=gfx1201 opt=O3
	.text
	.amdgcn_target "amdgcn-amd-amdhsa--gfx1201"
	.amdhsa_code_object_version 6
	.protected	fft_rtc_back_len2002_factors_2_13_7_11_wgs_182_tpt_182_halfLds_dp_op_CI_CI_sbrr_dirReg ; -- Begin function fft_rtc_back_len2002_factors_2_13_7_11_wgs_182_tpt_182_halfLds_dp_op_CI_CI_sbrr_dirReg
	.globl	fft_rtc_back_len2002_factors_2_13_7_11_wgs_182_tpt_182_halfLds_dp_op_CI_CI_sbrr_dirReg
	.p2align	8
	.type	fft_rtc_back_len2002_factors_2_13_7_11_wgs_182_tpt_182_halfLds_dp_op_CI_CI_sbrr_dirReg,@function
fft_rtc_back_len2002_factors_2_13_7_11_wgs_182_tpt_182_halfLds_dp_op_CI_CI_sbrr_dirReg: ; @fft_rtc_back_len2002_factors_2_13_7_11_wgs_182_tpt_182_halfLds_dp_op_CI_CI_sbrr_dirReg
; %bb.0:
	s_clause 0x2
	s_load_b128 s[12:15], s[0:1], 0x18
	s_load_b128 s[8:11], s[0:1], 0x0
	;; [unrolled: 1-line block ×3, first 2 shown]
	v_mul_u32_u24_e32 v1, 0x169, v0
	v_mov_b32_e32 v4, 0
	v_mov_b32_e32 v5, 0
	s_wait_kmcnt 0x0
	s_load_b64 s[18:19], s[12:13], 0x0
	s_load_b64 s[16:17], s[14:15], 0x0
	v_lshrrev_b32_e32 v2, 16, v1
	v_mov_b32_e32 v1, 0
	v_cmp_lt_u64_e64 s2, s[10:11], 2
	s_delay_alu instid0(VALU_DEP_2) | instskip(NEXT) | instid1(VALU_DEP_2)
	v_dual_mov_b32 v7, v1 :: v_dual_add_nc_u32 v6, ttmp9, v2
	s_and_b32 vcc_lo, exec_lo, s2
	s_cbranch_vccnz .LBB0_8
; %bb.1:
	s_load_b64 s[2:3], s[0:1], 0x10
	v_mov_b32_e32 v4, 0
	v_mov_b32_e32 v5, 0
	s_add_nc_u64 s[20:21], s[14:15], 8
	s_add_nc_u64 s[22:23], s[12:13], 8
	s_mov_b64 s[24:25], 1
	s_delay_alu instid0(VALU_DEP_1)
	v_dual_mov_b32 v71, v5 :: v_dual_mov_b32 v70, v4
	s_wait_kmcnt 0x0
	s_add_nc_u64 s[26:27], s[2:3], 8
	s_mov_b32 s3, 0
.LBB0_2:                                ; =>This Inner Loop Header: Depth=1
	s_load_b64 s[28:29], s[26:27], 0x0
                                        ; implicit-def: $vgpr72_vgpr73
	s_mov_b32 s2, exec_lo
	s_wait_kmcnt 0x0
	v_or_b32_e32 v2, s29, v7
	s_delay_alu instid0(VALU_DEP_1)
	v_cmpx_ne_u64_e32 0, v[1:2]
	s_wait_alu 0xfffe
	s_xor_b32 s30, exec_lo, s2
	s_cbranch_execz .LBB0_4
; %bb.3:                                ;   in Loop: Header=BB0_2 Depth=1
	s_cvt_f32_u32 s2, s28
	s_cvt_f32_u32 s31, s29
	s_sub_nc_u64 s[36:37], 0, s[28:29]
	s_wait_alu 0xfffe
	s_delay_alu instid0(SALU_CYCLE_1) | instskip(SKIP_1) | instid1(SALU_CYCLE_2)
	s_fmamk_f32 s2, s31, 0x4f800000, s2
	s_wait_alu 0xfffe
	v_s_rcp_f32 s2, s2
	s_delay_alu instid0(TRANS32_DEP_1) | instskip(SKIP_1) | instid1(SALU_CYCLE_2)
	s_mul_f32 s2, s2, 0x5f7ffffc
	s_wait_alu 0xfffe
	s_mul_f32 s31, s2, 0x2f800000
	s_wait_alu 0xfffe
	s_delay_alu instid0(SALU_CYCLE_2) | instskip(SKIP_1) | instid1(SALU_CYCLE_2)
	s_trunc_f32 s31, s31
	s_wait_alu 0xfffe
	s_fmamk_f32 s2, s31, 0xcf800000, s2
	s_cvt_u32_f32 s35, s31
	s_wait_alu 0xfffe
	s_delay_alu instid0(SALU_CYCLE_1) | instskip(SKIP_1) | instid1(SALU_CYCLE_2)
	s_cvt_u32_f32 s34, s2
	s_wait_alu 0xfffe
	s_mul_u64 s[38:39], s[36:37], s[34:35]
	s_wait_alu 0xfffe
	s_mul_hi_u32 s41, s34, s39
	s_mul_i32 s40, s34, s39
	s_mul_hi_u32 s2, s34, s38
	s_mul_i32 s33, s35, s38
	s_wait_alu 0xfffe
	s_add_nc_u64 s[40:41], s[2:3], s[40:41]
	s_mul_hi_u32 s31, s35, s38
	s_mul_hi_u32 s42, s35, s39
	s_add_co_u32 s2, s40, s33
	s_wait_alu 0xfffe
	s_add_co_ci_u32 s2, s41, s31
	s_mul_i32 s38, s35, s39
	s_add_co_ci_u32 s39, s42, 0
	s_wait_alu 0xfffe
	s_add_nc_u64 s[38:39], s[2:3], s[38:39]
	s_wait_alu 0xfffe
	v_add_co_u32 v2, s2, s34, s38
	s_delay_alu instid0(VALU_DEP_1) | instskip(SKIP_1) | instid1(VALU_DEP_1)
	s_cmp_lg_u32 s2, 0
	s_add_co_ci_u32 s35, s35, s39
	v_readfirstlane_b32 s34, v2
	s_wait_alu 0xfffe
	s_delay_alu instid0(VALU_DEP_1)
	s_mul_u64 s[36:37], s[36:37], s[34:35]
	s_wait_alu 0xfffe
	s_mul_hi_u32 s39, s34, s37
	s_mul_i32 s38, s34, s37
	s_mul_hi_u32 s2, s34, s36
	s_mul_i32 s33, s35, s36
	s_wait_alu 0xfffe
	s_add_nc_u64 s[38:39], s[2:3], s[38:39]
	s_mul_hi_u32 s31, s35, s36
	s_mul_hi_u32 s34, s35, s37
	s_wait_alu 0xfffe
	s_add_co_u32 s2, s38, s33
	s_add_co_ci_u32 s2, s39, s31
	s_mul_i32 s36, s35, s37
	s_add_co_ci_u32 s37, s34, 0
	s_wait_alu 0xfffe
	s_add_nc_u64 s[36:37], s[2:3], s[36:37]
	s_wait_alu 0xfffe
	v_add_co_u32 v8, s2, v2, s36
	s_delay_alu instid0(VALU_DEP_1) | instskip(SKIP_1) | instid1(VALU_DEP_1)
	s_cmp_lg_u32 s2, 0
	s_add_co_ci_u32 s2, s35, s37
	v_mul_hi_u32 v12, v6, v8
	s_wait_alu 0xfffe
	v_mad_co_u64_u32 v[2:3], null, v6, s2, 0
	v_mad_co_u64_u32 v[8:9], null, v7, v8, 0
	;; [unrolled: 1-line block ×3, first 2 shown]
	s_delay_alu instid0(VALU_DEP_3) | instskip(SKIP_1) | instid1(VALU_DEP_4)
	v_add_co_u32 v2, vcc_lo, v12, v2
	s_wait_alu 0xfffd
	v_add_co_ci_u32_e32 v3, vcc_lo, 0, v3, vcc_lo
	s_delay_alu instid0(VALU_DEP_2) | instskip(SKIP_1) | instid1(VALU_DEP_2)
	v_add_co_u32 v2, vcc_lo, v2, v8
	s_wait_alu 0xfffd
	v_add_co_ci_u32_e32 v2, vcc_lo, v3, v9, vcc_lo
	s_wait_alu 0xfffd
	v_add_co_ci_u32_e32 v3, vcc_lo, 0, v11, vcc_lo
	s_delay_alu instid0(VALU_DEP_2) | instskip(SKIP_1) | instid1(VALU_DEP_2)
	v_add_co_u32 v8, vcc_lo, v2, v10
	s_wait_alu 0xfffd
	v_add_co_ci_u32_e32 v9, vcc_lo, 0, v3, vcc_lo
	s_delay_alu instid0(VALU_DEP_2) | instskip(SKIP_1) | instid1(VALU_DEP_3)
	v_mul_lo_u32 v10, s29, v8
	v_mad_co_u64_u32 v[2:3], null, s28, v8, 0
	v_mul_lo_u32 v11, s28, v9
	s_delay_alu instid0(VALU_DEP_2) | instskip(NEXT) | instid1(VALU_DEP_2)
	v_sub_co_u32 v2, vcc_lo, v6, v2
	v_add3_u32 v3, v3, v11, v10
	s_delay_alu instid0(VALU_DEP_1) | instskip(SKIP_1) | instid1(VALU_DEP_1)
	v_sub_nc_u32_e32 v10, v7, v3
	s_wait_alu 0xfffd
	v_subrev_co_ci_u32_e64 v10, s2, s29, v10, vcc_lo
	v_add_co_u32 v11, s2, v8, 2
	s_wait_alu 0xf1ff
	v_add_co_ci_u32_e64 v12, s2, 0, v9, s2
	v_sub_co_u32 v13, s2, v2, s28
	v_sub_co_ci_u32_e32 v3, vcc_lo, v7, v3, vcc_lo
	s_wait_alu 0xf1ff
	v_subrev_co_ci_u32_e64 v10, s2, 0, v10, s2
	s_delay_alu instid0(VALU_DEP_3) | instskip(NEXT) | instid1(VALU_DEP_3)
	v_cmp_le_u32_e32 vcc_lo, s28, v13
	v_cmp_eq_u32_e64 s2, s29, v3
	s_wait_alu 0xfffd
	v_cndmask_b32_e64 v13, 0, -1, vcc_lo
	v_cmp_le_u32_e32 vcc_lo, s29, v10
	s_wait_alu 0xfffd
	v_cndmask_b32_e64 v14, 0, -1, vcc_lo
	v_cmp_le_u32_e32 vcc_lo, s28, v2
	;; [unrolled: 3-line block ×3, first 2 shown]
	s_wait_alu 0xfffd
	v_cndmask_b32_e64 v15, 0, -1, vcc_lo
	v_cmp_eq_u32_e32 vcc_lo, s29, v10
	s_wait_alu 0xf1ff
	s_delay_alu instid0(VALU_DEP_2)
	v_cndmask_b32_e64 v2, v15, v2, s2
	s_wait_alu 0xfffd
	v_cndmask_b32_e32 v10, v14, v13, vcc_lo
	v_add_co_u32 v13, vcc_lo, v8, 1
	s_wait_alu 0xfffd
	v_add_co_ci_u32_e32 v14, vcc_lo, 0, v9, vcc_lo
	s_delay_alu instid0(VALU_DEP_3) | instskip(SKIP_1) | instid1(VALU_DEP_2)
	v_cmp_ne_u32_e32 vcc_lo, 0, v10
	s_wait_alu 0xfffd
	v_dual_cndmask_b32 v3, v14, v12 :: v_dual_cndmask_b32 v10, v13, v11
	v_cmp_ne_u32_e32 vcc_lo, 0, v2
	s_wait_alu 0xfffd
	s_delay_alu instid0(VALU_DEP_2)
	v_dual_cndmask_b32 v73, v9, v3 :: v_dual_cndmask_b32 v72, v8, v10
.LBB0_4:                                ;   in Loop: Header=BB0_2 Depth=1
	s_wait_alu 0xfffe
	s_and_not1_saveexec_b32 s2, s30
	s_cbranch_execz .LBB0_6
; %bb.5:                                ;   in Loop: Header=BB0_2 Depth=1
	v_cvt_f32_u32_e32 v2, s28
	s_sub_co_i32 s30, 0, s28
	v_mov_b32_e32 v73, v1
	s_delay_alu instid0(VALU_DEP_2) | instskip(NEXT) | instid1(TRANS32_DEP_1)
	v_rcp_iflag_f32_e32 v2, v2
	v_mul_f32_e32 v2, 0x4f7ffffe, v2
	s_delay_alu instid0(VALU_DEP_1) | instskip(SKIP_1) | instid1(VALU_DEP_1)
	v_cvt_u32_f32_e32 v2, v2
	s_wait_alu 0xfffe
	v_mul_lo_u32 v3, s30, v2
	s_delay_alu instid0(VALU_DEP_1) | instskip(NEXT) | instid1(VALU_DEP_1)
	v_mul_hi_u32 v3, v2, v3
	v_add_nc_u32_e32 v2, v2, v3
	s_delay_alu instid0(VALU_DEP_1) | instskip(NEXT) | instid1(VALU_DEP_1)
	v_mul_hi_u32 v2, v6, v2
	v_mul_lo_u32 v3, v2, s28
	v_add_nc_u32_e32 v8, 1, v2
	s_delay_alu instid0(VALU_DEP_2) | instskip(NEXT) | instid1(VALU_DEP_1)
	v_sub_nc_u32_e32 v3, v6, v3
	v_subrev_nc_u32_e32 v9, s28, v3
	v_cmp_le_u32_e32 vcc_lo, s28, v3
	s_wait_alu 0xfffd
	s_delay_alu instid0(VALU_DEP_2) | instskip(NEXT) | instid1(VALU_DEP_1)
	v_dual_cndmask_b32 v3, v3, v9 :: v_dual_cndmask_b32 v2, v2, v8
	v_cmp_le_u32_e32 vcc_lo, s28, v3
	s_delay_alu instid0(VALU_DEP_2) | instskip(SKIP_1) | instid1(VALU_DEP_1)
	v_add_nc_u32_e32 v8, 1, v2
	s_wait_alu 0xfffd
	v_cndmask_b32_e32 v72, v2, v8, vcc_lo
.LBB0_6:                                ;   in Loop: Header=BB0_2 Depth=1
	s_wait_alu 0xfffe
	s_or_b32 exec_lo, exec_lo, s2
	v_mul_lo_u32 v8, v73, s28
	s_delay_alu instid0(VALU_DEP_2)
	v_mul_lo_u32 v9, v72, s29
	s_load_b64 s[30:31], s[22:23], 0x0
	v_mad_co_u64_u32 v[2:3], null, v72, s28, 0
	s_load_b64 s[28:29], s[20:21], 0x0
	s_add_nc_u64 s[24:25], s[24:25], 1
	s_add_nc_u64 s[20:21], s[20:21], 8
	s_wait_alu 0xfffe
	v_cmp_ge_u64_e64 s2, s[24:25], s[10:11]
	s_add_nc_u64 s[22:23], s[22:23], 8
	s_add_nc_u64 s[26:27], s[26:27], 8
	v_add3_u32 v3, v3, v9, v8
	v_sub_co_u32 v2, vcc_lo, v6, v2
	s_wait_alu 0xfffd
	s_delay_alu instid0(VALU_DEP_2) | instskip(SKIP_2) | instid1(VALU_DEP_1)
	v_sub_co_ci_u32_e32 v3, vcc_lo, v7, v3, vcc_lo
	s_and_b32 vcc_lo, exec_lo, s2
	s_wait_kmcnt 0x0
	v_mul_lo_u32 v6, s30, v3
	v_mul_lo_u32 v7, s31, v2
	v_mad_co_u64_u32 v[4:5], null, s30, v2, v[4:5]
	v_mul_lo_u32 v3, s28, v3
	v_mul_lo_u32 v8, s29, v2
	v_mad_co_u64_u32 v[70:71], null, s28, v2, v[70:71]
	s_delay_alu instid0(VALU_DEP_4) | instskip(NEXT) | instid1(VALU_DEP_2)
	v_add3_u32 v5, v7, v5, v6
	v_add3_u32 v71, v8, v71, v3
	s_wait_alu 0xfffe
	s_cbranch_vccnz .LBB0_9
; %bb.7:                                ;   in Loop: Header=BB0_2 Depth=1
	v_dual_mov_b32 v6, v72 :: v_dual_mov_b32 v7, v73
	s_branch .LBB0_2
.LBB0_8:
	v_dual_mov_b32 v71, v5 :: v_dual_mov_b32 v70, v4
	s_delay_alu instid0(VALU_DEP_2)
	v_dual_mov_b32 v73, v7 :: v_dual_mov_b32 v72, v6
.LBB0_9:
	s_load_b64 s[0:1], s[0:1], 0x28
	v_mul_hi_u32 v1, 0x1681682, v0
	s_lshl_b64 s[10:11], s[10:11], 3
                                        ; implicit-def: $vgpr155
                                        ; implicit-def: $vgpr159
                                        ; implicit-def: $vgpr156
                                        ; implicit-def: $vgpr157
                                        ; implicit-def: $vgpr158
	s_wait_alu 0xfffe
	s_add_nc_u64 s[2:3], s[14:15], s[10:11]
                                        ; implicit-def: $sgpr14
	s_wait_kmcnt 0x0
	v_cmp_gt_u64_e32 vcc_lo, s[0:1], v[72:73]
	v_cmp_le_u64_e64 s0, s[0:1], v[72:73]
	s_delay_alu instid0(VALU_DEP_1)
	s_and_saveexec_b32 s1, s0
	s_wait_alu 0xfffe
	s_xor_b32 s0, exec_lo, s1
; %bb.10:
	v_mul_u32_u24_e32 v1, 0xb6, v1
	s_mov_b32 s14, 0
                                        ; implicit-def: $vgpr4_vgpr5
	s_delay_alu instid0(VALU_DEP_1) | instskip(NEXT) | instid1(VALU_DEP_1)
	v_sub_nc_u32_e32 v155, v0, v1
                                        ; implicit-def: $vgpr1
                                        ; implicit-def: $vgpr0
	v_add_nc_u32_e32 v159, 0xb6, v155
	v_add_nc_u32_e32 v156, 0x16c, v155
	;; [unrolled: 1-line block ×4, first 2 shown]
; %bb.11:
	s_wait_alu 0xfffe
	s_or_saveexec_b32 s1, s0
	s_load_b64 s[2:3], s[2:3], 0x0
	v_mov_b32_e32 v154, s14
                                        ; implicit-def: $vgpr68_vgpr69
                                        ; implicit-def: $vgpr64_vgpr65
                                        ; implicit-def: $vgpr40_vgpr41
                                        ; implicit-def: $vgpr44_vgpr45
                                        ; implicit-def: $vgpr56_vgpr57
                                        ; implicit-def: $vgpr48_vgpr49
                                        ; implicit-def: $vgpr60_vgpr61
                                        ; implicit-def: $vgpr52_vgpr53
                                        ; implicit-def: $vgpr28_vgpr29
                                        ; implicit-def: $vgpr36_vgpr37
                                        ; implicit-def: $vgpr2_vgpr3
                                        ; implicit-def: $vgpr32_vgpr33
	s_xor_b32 exec_lo, exec_lo, s1
	s_cbranch_execz .LBB0_15
; %bb.12:
	s_add_nc_u64 s[10:11], s[12:13], s[10:11]
	v_mul_u32_u24_e32 v1, 0xb6, v1
	s_load_b64 s[10:11], s[10:11], 0x0
	v_lshlrev_b64_e32 v[4:5], 4, v[4:5]
                                        ; implicit-def: $vgpr62_vgpr63
                                        ; implicit-def: $vgpr66_vgpr67
	s_delay_alu instid0(VALU_DEP_2) | instskip(NEXT) | instid1(VALU_DEP_1)
	v_sub_nc_u32_e32 v155, v0, v1
	v_add_nc_u32_e32 v14, 0x3e9, v155
	v_add_nc_u32_e32 v159, 0xb6, v155
	v_mad_co_u64_u32 v[0:1], null, s18, v155, 0
	v_add_nc_u32_e32 v157, 0x222, v155
	s_delay_alu instid0(VALU_DEP_4) | instskip(NEXT) | instid1(VALU_DEP_4)
	v_mad_co_u64_u32 v[2:3], null, s18, v14, 0
	v_mad_co_u64_u32 v[6:7], null, s18, v159, 0
	v_add_nc_u32_e32 v16, 0x49f, v155
	v_add_nc_u32_e32 v23, 0x6c1, v155
	s_wait_kmcnt 0x0
	v_mul_lo_u32 v15, s11, v72
	v_mul_lo_u32 v17, s10, v73
	v_mad_co_u64_u32 v[10:11], null, s10, v72, 0
	v_mad_co_u64_u32 v[12:13], null, s19, v155, v[1:2]
	v_mov_b32_e32 v1, v3
	v_mov_b32_e32 v3, v7
	v_mad_co_u64_u32 v[8:9], null, s18, v16, 0
	v_add3_u32 v11, v11, v17, v15
	s_delay_alu instid0(VALU_DEP_4)
	v_mad_co_u64_u32 v[13:14], null, s19, v14, v[1:2]
	v_add_nc_u32_e32 v156, 0x16c, v155
	v_mad_co_u64_u32 v[14:15], null, s19, v159, v[3:4]
	v_mov_b32_e32 v7, v9
	v_lshlrev_b64_e32 v[9:10], 4, v[10:11]
	v_dual_mov_b32 v1, v12 :: v_dual_add_nc_u32 v18, 0x555, v155
	v_dual_mov_b32 v3, v13 :: v_dual_add_nc_u32 v20, 0x60b, v155
	s_delay_alu instid0(VALU_DEP_4)
	v_mad_co_u64_u32 v[11:12], null, s19, v16, v[7:8]
	v_mad_co_u64_u32 v[12:13], null, s18, v156, 0
	v_add_co_u32 v9, s0, s4, v9
	s_wait_alu 0xf1ff
	v_add_co_ci_u32_e64 v10, s0, s5, v10, s0
	v_lshlrev_b64_e32 v[0:1], 4, v[0:1]
	s_delay_alu instid0(VALU_DEP_3)
	v_add_co_u32 v4, s0, v9, v4
	v_mad_co_u64_u32 v[16:17], null, s18, v157, 0
	v_mov_b32_e32 v7, v14
	s_wait_alu 0xf1ff
	v_add_co_ci_u32_e64 v5, s0, v10, v5, s0
	v_lshlrev_b64_e32 v[2:3], 4, v[2:3]
	v_dual_mov_b32 v10, v13 :: v_dual_mov_b32 v9, v11
	v_add_nc_u32_e32 v158, 0x2d8, v155
	v_add_co_u32 v0, s0, v4, v0
	v_lshlrev_b64_e32 v[6:7], 4, v[6:7]
	v_mad_co_u64_u32 v[14:15], null, s18, v18, 0
	s_wait_alu 0xf1ff
	v_add_co_ci_u32_e64 v1, s0, v5, v1, s0
	v_mad_co_u64_u32 v[10:11], null, s19, v156, v[10:11]
	v_add_co_u32 v2, s0, v4, v2
	v_lshlrev_b64_e32 v[8:9], 4, v[8:9]
	s_wait_alu 0xf1ff
	v_add_co_ci_u32_e64 v3, s0, v5, v3, s0
	v_add_co_u32 v6, s0, v4, v6
	s_wait_alu 0xf1ff
	v_add_co_ci_u32_e64 v7, s0, v5, v7, s0
	v_mov_b32_e32 v11, v15
	v_add_co_u32 v8, s0, v4, v8
	v_mov_b32_e32 v13, v10
	s_wait_alu 0xf1ff
	v_add_co_ci_u32_e64 v9, s0, v5, v9, s0
	v_mad_co_u64_u32 v[18:19], null, s19, v18, v[11:12]
	v_mad_co_u64_u32 v[10:11], null, s18, v20, 0
	s_clause 0x3
	global_load_b128 v[30:33], v[0:1], off
	global_load_b128 v[0:3], v[2:3], off
	;; [unrolled: 1-line block ×4, first 2 shown]
	v_lshlrev_b64_e32 v[7:8], 4, v[12:13]
	v_dual_mov_b32 v6, v17 :: v_dual_mov_b32 v15, v18
	v_mad_co_u64_u32 v[18:19], null, s18, v158, 0
	s_mov_b32 s4, exec_lo
	s_delay_alu instid0(VALU_DEP_2) | instskip(SKIP_2) | instid1(VALU_DEP_2)
	v_mad_co_u64_u32 v[12:13], null, s19, v157, v[6:7]
	v_mov_b32_e32 v6, v11
	v_lshlrev_b64_e32 v[13:14], 4, v[14:15]
	v_mad_co_u64_u32 v[20:21], null, s19, v20, v[6:7]
	v_mad_co_u64_u32 v[21:22], null, s18, v23, 0
	v_add_co_u32 v6, s0, v4, v7
	s_wait_alu 0xf1ff
	v_add_co_ci_u32_e64 v7, s0, v5, v8, s0
	v_dual_mov_b32 v8, v19 :: v_dual_mov_b32 v17, v12
	v_add_co_u32 v12, s0, v4, v13
	v_mov_b32_e32 v11, v20
	s_delay_alu instid0(VALU_DEP_3) | instskip(SKIP_4) | instid1(VALU_DEP_3)
	v_mad_co_u64_u32 v[8:9], null, s19, v158, v[8:9]
	v_mov_b32_e32 v9, v22
	s_wait_alu 0xf1ff
	v_add_co_ci_u32_e64 v13, s0, v5, v14, s0
	v_lshlrev_b64_e32 v[14:15], 4, v[16:17]
	v_mad_co_u64_u32 v[16:17], null, s19, v23, v[9:10]
	v_lshlrev_b64_e32 v[9:10], 4, v[10:11]
	v_mov_b32_e32 v19, v8
	s_delay_alu instid0(VALU_DEP_4)
	v_add_co_u32 v14, s0, v4, v14
	s_wait_alu 0xf1ff
	v_add_co_ci_u32_e64 v15, s0, v5, v15, s0
	v_mov_b32_e32 v22, v16
	v_lshlrev_b64_e32 v[17:18], 4, v[18:19]
	v_add_co_u32 v8, s0, v4, v9
	s_wait_alu 0xf1ff
	v_add_co_ci_u32_e64 v9, s0, v5, v10, s0
	v_lshlrev_b64_e32 v[10:11], 4, v[21:22]
	s_delay_alu instid0(VALU_DEP_4) | instskip(SKIP_2) | instid1(VALU_DEP_3)
	v_add_co_u32 v16, s0, v4, v17
	s_wait_alu 0xf1ff
	v_add_co_ci_u32_e64 v17, s0, v5, v18, s0
	v_add_co_u32 v10, s0, v4, v10
	s_wait_alu 0xf1ff
	v_add_co_ci_u32_e64 v11, s0, v5, v11, s0
	s_clause 0x5
	global_load_b128 v[50:53], v[6:7], off
	global_load_b128 v[58:61], v[12:13], off
	;; [unrolled: 1-line block ×6, first 2 shown]
	v_cmpx_gt_u32_e32 0x5b, v155
	s_cbranch_execz .LBB0_14
; %bb.13:
	v_add_nc_u32_e32 v10, 0x38e, v155
	v_add_nc_u32_e32 v12, 0x777, v155
	s_delay_alu instid0(VALU_DEP_2) | instskip(NEXT) | instid1(VALU_DEP_2)
	v_mad_co_u64_u32 v[6:7], null, s18, v10, 0
	v_mad_co_u64_u32 v[8:9], null, s18, v12, 0
	s_delay_alu instid0(VALU_DEP_1) | instskip(NEXT) | instid1(VALU_DEP_1)
	v_mad_co_u64_u32 v[10:11], null, s19, v10, v[7:8]
	v_mov_b32_e32 v7, v10
	s_delay_alu instid0(VALU_DEP_3) | instskip(NEXT) | instid1(VALU_DEP_2)
	v_mad_co_u64_u32 v[11:12], null, s19, v12, v[9:10]
	v_lshlrev_b64_e32 v[6:7], 4, v[6:7]
	s_delay_alu instid0(VALU_DEP_2) | instskip(NEXT) | instid1(VALU_DEP_2)
	v_mov_b32_e32 v9, v11
	v_add_co_u32 v6, s0, v4, v6
	s_wait_alu 0xf1ff
	s_delay_alu instid0(VALU_DEP_3) | instskip(NEXT) | instid1(VALU_DEP_3)
	v_add_co_ci_u32_e64 v7, s0, v5, v7, s0
	v_lshlrev_b64_e32 v[8:9], 4, v[8:9]
	s_delay_alu instid0(VALU_DEP_1) | instskip(SKIP_1) | instid1(VALU_DEP_2)
	v_add_co_u32 v4, s0, v4, v8
	s_wait_alu 0xf1ff
	v_add_co_ci_u32_e64 v5, s0, v5, v9, s0
	s_clause 0x1
	global_load_b128 v[62:65], v[6:7], off
	global_load_b128 v[66:69], v[4:5], off
.LBB0_14:
	s_wait_alu 0xfffe
	s_or_b32 exec_lo, exec_lo, s4
	v_mov_b32_e32 v154, v155
.LBB0_15:
	s_or_b32 exec_lo, exec_lo, s1
	s_wait_loadcnt 0x8
	v_add_f64_e64 v[6:7], v[30:31], -v[0:1]
	s_wait_loadcnt 0x6
	v_add_f64_e64 v[22:23], v[34:35], -v[26:27]
	;; [unrolled: 2-line block ×5, first 2 shown]
	v_add_f64_e64 v[26:27], v[62:63], -v[66:67]
	v_add_nc_u32_e32 v0, 0x38e, v155
	v_lshl_add_u32 v58, v159, 4, 0
	v_lshl_add_u32 v66, v156, 4, 0
	v_cmp_gt_u32_e64 s1, 0x5b, v155
	v_fma_f64 v[4:5], v[30:31], 2.0, -v[6:7]
	v_fma_f64 v[20:21], v[34:35], 2.0, -v[22:23]
	;; [unrolled: 1-line block ×6, first 2 shown]
	v_lshl_add_u32 v50, v155, 4, 0
	v_lshl_add_u32 v63, v157, 4, 0
	;; [unrolled: 1-line block ×4, first 2 shown]
	ds_store_b128 v50, v[4:7]
	ds_store_b128 v58, v[20:23]
	ds_store_b128 v66, v[12:15]
	ds_store_b128 v63, v[8:11]
	ds_store_b128 v62, v[16:19]
	s_and_saveexec_b32 s0, s1
	s_cbranch_execz .LBB0_17
; %bb.16:
	ds_store_b128 v51, v[24:27]
.LBB0_17:
	s_wait_alu 0xfffe
	s_or_b32 exec_lo, exec_lo, s0
	v_cmp_gt_u32_e64 s0, 0x9a, v155
	v_lshlrev_b32_e32 v59, 3, v155
	global_wb scope:SCOPE_SE
	s_wait_dscnt 0x0
	s_wait_kmcnt 0x0
	s_barrier_signal -1
	s_barrier_wait -1
	global_inv scope:SCOPE_SE
                                        ; implicit-def: $vgpr54_vgpr55
	s_and_saveexec_b32 s4, s0
	s_cbranch_execz .LBB0_19
; %bb.18:
	v_sub_nc_u32_e32 v0, v50, v59
	s_delay_alu instid0(VALU_DEP_1)
	v_add_nc_u32_e32 v1, 0x800, v0
	v_add_nc_u32_e32 v8, 0x1200, v0
	;; [unrolled: 1-line block ×5, first 2 shown]
	ds_load_2addr_b64 v[4:7], v0 offset1:154
	ds_load_2addr_b64 v[20:23], v1 offset0:52 offset1:206
	ds_load_2addr_b64 v[12:15], v8 offset0:40 offset1:194
	;; [unrolled: 1-line block ×5, first 2 shown]
	ds_load_b64 v[54:55], v0 offset:14784
.LBB0_19:
	s_wait_alu 0xfffe
	s_or_b32 exec_lo, exec_lo, s4
	v_add_f64_e64 v[2:3], v[32:33], -v[2:3]
	v_add_f64_e64 v[42:43], v[36:37], -v[28:29]
	;; [unrolled: 1-line block ×6, first 2 shown]
	global_wb scope:SCOPE_SE
	s_wait_dscnt 0x0
	s_barrier_signal -1
	s_barrier_wait -1
	global_inv scope:SCOPE_SE
	v_fma_f64 v[0:1], v[32:33], 2.0, -v[2:3]
	v_fma_f64 v[40:41], v[36:37], 2.0, -v[42:43]
	;; [unrolled: 1-line block ×6, first 2 shown]
	ds_store_b128 v50, v[0:3]
	ds_store_b128 v58, v[40:43]
	;; [unrolled: 1-line block ×5, first 2 shown]
	s_and_saveexec_b32 s4, s1
	s_cbranch_execz .LBB0_21
; %bb.20:
	ds_store_b128 v51, v[44:47]
.LBB0_21:
	s_wait_alu 0xfffe
	s_or_b32 exec_lo, exec_lo, s4
	global_wb scope:SCOPE_SE
	s_wait_dscnt 0x0
	s_barrier_signal -1
	s_barrier_wait -1
	global_inv scope:SCOPE_SE
                                        ; implicit-def: $vgpr48_vgpr49
	s_and_saveexec_b32 s1, s0
	s_cbranch_execz .LBB0_23
; %bb.22:
	v_sub_nc_u32_e32 v48, v50, v59
	s_delay_alu instid0(VALU_DEP_1)
	v_add_nc_u32_e32 v28, 0x800, v48
	v_add_nc_u32_e32 v29, 0x1200, v48
	;; [unrolled: 1-line block ×5, first 2 shown]
	ds_load_2addr_b64 v[0:3], v48 offset1:154
	ds_load_2addr_b64 v[40:43], v28 offset0:52 offset1:206
	ds_load_2addr_b64 v[32:35], v29 offset0:40 offset1:194
	;; [unrolled: 1-line block ×5, first 2 shown]
	ds_load_b64 v[48:49], v48 offset:14784
.LBB0_23:
	s_wait_alu 0xfffe
	s_or_b32 exec_lo, exec_lo, s1
	v_and_b32_e32 v162, 1, v155
	s_mov_b32 s26, 0x42a4c3d2
	s_mov_b32 s34, 0x66966769
	;; [unrolled: 1-line block ×4, first 2 shown]
	v_mul_u32_u24_e32 v50, 12, v162
	s_mov_b32 s30, 0x24c2f84
	s_mov_b32 s23, 0xbfddbe06
	;; [unrolled: 1-line block ×4, first 2 shown]
	v_lshlrev_b32_e32 v50, 4, v50
	s_mov_b32 s35, 0xbfefc445
	s_mov_b32 s25, 0xbfedeba7
	;; [unrolled: 1-line block ×4, first 2 shown]
	s_clause 0xb
	global_load_b128 v[56:59], v50, s[8:9] offset:176
	global_load_b128 v[60:63], v50, s[8:9]
	global_load_b128 v[64:67], v50, s[8:9] offset:16
	global_load_b128 v[74:77], v50, s[8:9] offset:160
	;; [unrolled: 1-line block ×10, first 2 shown]
	s_mov_b32 s12, 0xe00740e9
	s_mov_b32 s10, 0x1ea71119
	;; [unrolled: 1-line block ×14, first 2 shown]
	s_wait_alu 0xfffe
	s_mov_b32 s38, s30
	s_mov_b32 s36, s34
	;; [unrolled: 1-line block ×6, first 2 shown]
	global_wb scope:SCOPE_SE
	s_wait_loadcnt_dscnt 0x0
	s_barrier_signal -1
	s_barrier_wait -1
	global_inv scope:SCOPE_SE
	v_mul_f64_e32 v[50:51], v[54:55], v[58:59]
	v_mul_f64_e32 v[52:53], v[6:7], v[62:63]
	;; [unrolled: 1-line block ×14, first 2 shown]
	v_fma_f64 v[48:49], v[48:49], v[56:57], -v[50:51]
	v_fma_f64 v[50:51], v[2:3], v[60:61], -v[52:53]
	v_mul_f64_e32 v[2:3], v[22:23], v[94:95]
	v_fma_f64 v[52:53], v[40:41], v[64:65], -v[68:69]
	v_fma_f64 v[40:41], v[46:47], v[74:75], -v[78:79]
	v_fma_f64 v[78:79], v[54:55], v[56:57], v[58:59]
	v_fma_f64 v[80:81], v[6:7], v[60:61], v[62:63]
	v_mul_f64_e32 v[60:61], v[42:43], v[94:95]
	v_mul_f64_e32 v[68:69], v[12:13], v[106:107]
	;; [unrolled: 1-line block ×3, first 2 shown]
	v_fma_f64 v[56:57], v[20:21], v[64:65], v[66:67]
	v_fma_f64 v[58:59], v[26:27], v[74:75], v[76:77]
	v_mul_f64_e32 v[64:65], v[14:15], v[116:117]
	v_mul_f64_e32 v[74:75], v[16:17], v[120:121]
	;; [unrolled: 1-line block ×3, first 2 shown]
	v_fma_f64 v[66:67], v[24:25], v[96:97], v[98:99]
	v_mul_f64_e32 v[116:117], v[34:35], v[116:117]
	v_mul_f64_e32 v[120:121], v[36:37], v[120:121]
	v_add_f64_e64 v[6:7], v[50:51], -v[48:49]
	v_fma_f64 v[46:47], v[42:43], v[92:93], -v[2:3]
	v_fma_f64 v[42:43], v[44:45], v[96:97], -v[82:83]
	v_add_f64_e64 v[2:3], v[52:53], -v[40:41]
	v_add_f64_e32 v[86:87], v[80:81], v[78:79]
	v_fma_f64 v[62:63], v[22:23], v[92:93], v[60:61]
	v_fma_f64 v[26:27], v[32:33], v[104:105], -v[68:69]
	v_fma_f64 v[20:21], v[38:39], v[108:109], -v[94:95]
	v_add_f64_e32 v[102:103], v[56:57], v[58:59]
	v_fma_f64 v[24:25], v[34:35], v[114:115], -v[64:65]
	v_fma_f64 v[22:23], v[36:37], v[118:119], -v[74:75]
	v_fma_f64 v[64:65], v[18:19], v[108:109], v[76:77]
	v_fma_f64 v[18:19], v[30:31], v[128:129], -v[140:141]
	v_fma_f64 v[74:75], v[14:15], v[114:115], v[116:117]
	v_fma_f64 v[76:77], v[16:17], v[118:119], v[120:121]
	v_mul_f64_e32 v[44:45], s[22:23], v[6:7]
	v_mul_f64_e32 v[54:55], s[26:27], v[6:7]
	;; [unrolled: 1-line block ×6, first 2 shown]
	s_mov_b32 s23, 0x3fddbe06
	v_mul_f64_e32 v[6:7], v[32:33], v[106:107]
	v_add_f64_e64 v[32:33], v[46:47], -v[42:43]
	v_mul_f64_e32 v[38:39], s[26:27], v[2:3]
	v_mul_f64_e32 v[92:93], s[24:25], v[2:3]
	;; [unrolled: 1-line block ×3, first 2 shown]
	s_wait_alu 0xfffe
	v_mul_f64_e32 v[96:97], s[38:39], v[2:3]
	v_mul_f64_e32 v[98:99], s[36:37], v[2:3]
	;; [unrolled: 1-line block ×3, first 2 shown]
	v_add_f64_e32 v[112:113], v[62:63], v[66:67]
	v_add_f64_e64 v[14:15], v[24:25], -v[22:23]
	v_fma_f64 v[2:3], v[86:87], s[12:13], -v[44:45]
	v_fma_f64 v[68:69], v[86:87], s[10:11], -v[54:55]
	;; [unrolled: 1-line block ×6, first 2 shown]
	v_fma_f64 v[60:61], v[12:13], v[104:105], v[6:7]
	v_add_f64_e64 v[6:7], v[26:27], -v[20:21]
	v_mul_f64_e32 v[34:35], s[34:35], v[32:33]
	v_mul_f64_e32 v[36:37], s[28:29], v[32:33]
	v_mul_f64_e32 v[104:105], s[40:41], v[32:33]
	v_mul_f64_e32 v[106:107], s[26:27], v[32:33]
	v_mul_f64_e32 v[110:111], s[30:31], v[32:33]
	v_mul_f64_e32 v[108:109], s[22:23], v[32:33]
	v_fma_f64 v[12:13], v[102:103], s[10:11], -v[38:39]
	v_fma_f64 v[142:143], v[102:103], s[14:15], -v[92:93]
	;; [unrolled: 1-line block ×6, first 2 shown]
	s_mov_b32 s41, 0x3fcea1e5
	s_mov_b32 s40, s28
	v_fma_f64 v[32:33], v[28:29], v[124:125], -v[138:139]
	v_fma_f64 v[28:29], v[8:9], v[124:125], v[126:127]
	v_mul_f64_e32 v[124:125], s[30:31], v[14:15]
	v_mul_f64_e32 v[126:127], s[36:37], v[14:15]
	;; [unrolled: 1-line block ×3, first 2 shown]
	v_add_f64_e32 v[2:3], v[4:5], v[2:3]
	v_add_f64_e32 v[68:69], v[4:5], v[68:69]
	;; [unrolled: 1-line block ×7, first 2 shown]
	v_mul_f64_e32 v[16:17], s[24:25], v[6:7]
	v_mul_f64_e32 v[30:31], s[38:39], v[6:7]
	;; [unrolled: 1-line block ×3, first 2 shown]
	s_wait_alu 0xfffe
	v_mul_f64_e32 v[118:119], s[40:41], v[6:7]
	v_mul_f64_e32 v[120:121], s[42:43], v[6:7]
	;; [unrolled: 1-line block ×3, first 2 shown]
	v_fma_f64 v[6:7], v[112:113], s[4:5], -v[34:35]
	v_fma_f64 v[140:141], v[112:113], s[20:21], -v[36:37]
	;; [unrolled: 1-line block ×6, first 2 shown]
	v_add_f64_e64 v[8:9], v[32:33], -v[18:19]
	v_add_f64_e32 v[2:3], v[12:13], v[2:3]
	v_add_f64_e32 v[12:13], v[142:143], v[68:69]
	;; [unrolled: 1-line block ×6, first 2 shown]
	v_fma_f64 v[68:69], v[10:11], v[128:129], v[130:131]
	v_add_f64_e32 v[130:131], v[74:75], v[76:77]
	v_mul_f64_e32 v[128:129], s[26:27], v[14:15]
	v_mul_f64_e32 v[132:133], s[40:41], v[14:15]
	;; [unrolled: 1-line block ×3, first 2 shown]
	v_fma_f64 v[10:11], v[122:123], s[14:15], -v[16:17]
	v_fma_f64 v[14:15], v[122:123], s[18:19], -v[30:31]
	;; [unrolled: 1-line block ×6, first 2 shown]
	v_mul_f64_e32 v[150:151], s[36:37], v[8:9]
	v_add_f64_e32 v[2:3], v[6:7], v[2:3]
	v_add_f64_e32 v[6:7], v[140:141], v[12:13]
	;; [unrolled: 1-line block ×7, first 2 shown]
	v_mul_f64_e32 v[134:135], s[28:29], v[8:9]
	v_mul_f64_e32 v[140:141], s[30:31], v[8:9]
	;; [unrolled: 1-line block ×5, first 2 shown]
	v_fma_f64 v[8:9], v[130:131], s[18:19], -v[124:125]
	v_fma_f64 v[167:168], v[130:131], s[4:5], -v[126:127]
	;; [unrolled: 1-line block ×6, first 2 shown]
	v_add_f64_e32 v[2:3], v[10:11], v[2:3]
	v_add_f64_e32 v[6:7], v[14:15], v[6:7]
	;; [unrolled: 1-line block ×6, first 2 shown]
	v_fma_f64 v[171:172], v[148:149], s[4:5], -v[150:151]
	v_fma_f64 v[160:161], v[148:149], s[20:21], -v[134:135]
	;; [unrolled: 1-line block ×6, first 2 shown]
	v_add_f64_e32 v[2:3], v[8:9], v[2:3]
	v_add_f64_e32 v[8:9], v[167:168], v[6:7]
	v_add_f64_e32 v[10:11], v[175:176], v[10:11]
	v_add_f64_e32 v[12:13], v[177:178], v[12:13]
	v_add_f64_e32 v[14:15], v[181:182], v[14:15]
	v_add_f64_e32 v[152:153], v[179:180], v[152:153]
	v_add_f64_e32 v[6:7], v[160:161], v[2:3]
	v_add_f64_e32 v[8:9], v[173:174], v[8:9]
	v_add_f64_e32 v[10:11], v[163:164], v[10:11]
	v_add_f64_e32 v[12:13], v[165:166], v[12:13]
	v_add_f64_e32 v[14:15], v[169:170], v[14:15]
	v_add_f64_e32 v[2:3], v[171:172], v[152:153]
	v_lshrrev_b32_e32 v163, 1, v155
	s_and_saveexec_b32 s1, s0
	s_cbranch_execz .LBB0_25
; %bb.24:
	v_add_f64_e32 v[152:153], v[4:5], v[80:81]
	v_mul_f64_e32 v[164:165], s[18:19], v[86:87]
	v_mul_f64_e32 v[166:167], s[4:5], v[86:87]
	;; [unrolled: 1-line block ×12, first 2 shown]
	v_add_f64_e32 v[152:153], v[152:153], v[56:57]
	v_add_f64_e32 v[88:89], v[164:165], v[88:89]
	;; [unrolled: 1-line block ×7, first 2 shown]
	v_mul_f64_e32 v[160:161], s[20:21], v[112:113]
	v_mul_f64_e32 v[164:165], s[14:15], v[112:113]
	;; [unrolled: 1-line block ×3, first 2 shown]
	v_add_f64_e32 v[98:99], v[174:175], v[98:99]
	v_add_f64_e32 v[94:95], v[178:179], v[94:95]
	;; [unrolled: 1-line block ×3, first 2 shown]
	v_mul_f64_e32 v[166:167], s[12:13], v[112:113]
	v_add_f64_e32 v[96:97], v[176:177], v[96:97]
	v_add_f64_e32 v[100:101], v[172:173], v[100:101]
	;; [unrolled: 1-line block ×3, first 2 shown]
	v_mul_f64_e32 v[102:103], s[18:19], v[122:123]
	v_mul_f64_e32 v[170:171], s[12:13], v[122:123]
	;; [unrolled: 1-line block ×4, first 2 shown]
	v_add_f64_e32 v[152:153], v[152:153], v[62:63]
	v_add_f64_e32 v[88:89], v[4:5], v[88:89]
	;; [unrolled: 1-line block ×15, first 2 shown]
	v_mul_f64_e32 v[102:103], s[10:11], v[148:149]
	v_add_f64_e32 v[152:153], v[152:153], v[60:61]
	v_add_f64_e32 v[88:89], v[98:99], v[88:89]
	;; [unrolled: 1-line block ×7, first 2 shown]
	v_mul_f64_e32 v[92:93], s[4:5], v[130:131]
	v_mul_f64_e32 v[94:95], s[10:11], v[130:131]
	;; [unrolled: 1-line block ×5, first 2 shown]
	v_add_f64_e32 v[102:103], v[102:103], v[142:143]
	v_add_f64_e32 v[152:153], v[152:153], v[74:75]
	;; [unrolled: 1-line block ×6, first 2 shown]
	v_mul_f64_e32 v[82:83], s[12:13], v[148:149]
	v_mul_f64_e32 v[104:105], s[14:15], v[148:149]
	v_add_f64_e32 v[92:93], v[92:93], v[126:127]
	v_add_f64_e32 v[94:95], v[94:95], v[128:129]
	;; [unrolled: 1-line block ×4, first 2 shown]
	v_mul_f64_e32 v[106:107], s[4:5], v[148:149]
	v_add_f64_e32 v[100:101], v[100:101], v[138:139]
	v_add_f64_e32 v[86:87], v[152:153], v[28:29]
	v_mul_f64_e32 v[152:153], s[4:5], v[112:113]
	v_mul_f64_e32 v[112:113], s[18:19], v[112:113]
	v_add_f64_e32 v[88:89], v[118:119], v[88:89]
	v_add_f64_e32 v[84:85], v[116:117], v[84:85]
	;; [unrolled: 1-line block ×7, first 2 shown]
	v_mul_f64_e32 v[86:87], s[14:15], v[122:123]
	v_mul_f64_e32 v[122:123], s[10:11], v[122:123]
	v_add_f64_e32 v[110:111], v[112:113], v[110:111]
	v_add_f64_e32 v[34:35], v[152:153], v[34:35]
	;; [unrolled: 1-line block ×10, first 2 shown]
	v_mul_f64_e32 v[44:45], s[18:19], v[130:131]
	v_add_f64_e32 v[4:5], v[34:35], v[4:5]
	v_mul_f64_e32 v[90:91], s[18:19], v[148:149]
	v_add_f64_e32 v[30:31], v[82:83], v[30:31]
	v_add_f64_e32 v[36:37], v[102:103], v[36:37]
	;; [unrolled: 1-line block ×3, first 2 shown]
	v_mul_f64_e32 v[38:39], s[20:21], v[148:149]
	v_add_f64_e32 v[86:87], v[112:113], v[86:87]
	v_add_f64_e32 v[44:45], v[44:45], v[124:125]
	;; [unrolled: 1-line block ×14, first 2 shown]
	v_mul_u32_u24_e32 v38, 26, v163
	s_delay_alu instid0(VALU_DEP_1) | instskip(NEXT) | instid1(VALU_DEP_1)
	v_or_b32_e32 v38, v38, v162
	v_lshl_add_u32 v38, v38, 3, 0
	v_add_f64_e32 v[16:17], v[16:17], v[78:79]
	ds_store_2addr_b64 v38, v[14:15], v[12:13] offset0:16 offset1:18
	ds_store_2addr_b64 v38, v[10:11], v[8:9] offset0:20 offset1:22
	;; [unrolled: 1-line block ×5, first 2 shown]
	ds_store_2addr_b64 v38, v[16:17], v[4:5] offset1:2
	ds_store_b64 v38, v[6:7] offset:192
.LBB0_25:
	s_wait_alu 0xfffe
	s_or_b32 exec_lo, exec_lo, s1
	v_lshl_add_u32 v160, v155, 3, 0
	global_wb scope:SCOPE_SE
	s_wait_dscnt 0x0
	s_barrier_signal -1
	s_barrier_wait -1
	global_inv scope:SCOPE_SE
	ds_load_b64 v[16:17], v160
	ds_load_b64 v[36:37], v160 offset:2288
	ds_load_b64 v[38:39], v160 offset:4576
	ds_load_b64 v[34:35], v160 offset:6864
	ds_load_b64 v[30:31], v160 offset:9152
	ds_load_b64 v[44:45], v160 offset:11440
	ds_load_b64 v[54:55], v160 offset:13728
	v_cmp_gt_u32_e64 s1, 0x68, v155
	v_lshl_add_u32 v161, v159, 3, 0
                                        ; implicit-def: $vgpr4_vgpr5
	s_delay_alu instid0(VALU_DEP_2)
	s_and_saveexec_b32 s4, s1
	s_cbranch_execz .LBB0_27
; %bb.26:
	ds_load_b64 v[14:15], v160 offset:3744
	ds_load_b64 v[12:13], v160 offset:6032
	;; [unrolled: 1-line block ×5, first 2 shown]
	ds_load_b64 v[2:3], v161
	ds_load_b64 v[4:5], v160 offset:15184
.LBB0_27:
	s_wait_alu 0xfffe
	s_or_b32 exec_lo, exec_lo, s4
	v_add_f64_e32 v[92:93], v[50:51], v[48:49]
	s_mov_b32 s28, 0xe00740e9
	s_mov_b32 s30, 0x1ea71119
	;; [unrolled: 1-line block ×12, first 2 shown]
	v_add_f64_e64 v[78:79], v[80:81], -v[78:79]
	v_add_f64_e32 v[104:105], v[52:53], v[40:41]
	s_mov_b32 s26, 0x4267c47c
	s_mov_b32 s10, 0x42a4c3d2
	;; [unrolled: 1-line block ×12, first 2 shown]
	v_add_f64_e32 v[118:119], v[46:47], v[42:43]
	v_add_f64_e64 v[116:117], v[56:57], -v[58:59]
	s_mov_b32 s25, 0x3fe5384d
	s_mov_b32 s19, 0x3fefc445
	s_wait_alu 0xfffe
	s_mov_b32 s24, s12
	s_mov_b32 s18, s20
	;; [unrolled: 1-line block ×3, first 2 shown]
	v_add_f64_e64 v[114:115], v[62:63], -v[66:67]
	v_add_f64_e32 v[62:63], v[26:27], v[20:21]
	s_mov_b32 s41, 0x3fedeba7
	s_mov_b32 s40, s4
	v_mul_f64_e32 v[90:91], s[28:29], v[92:93]
	v_mul_f64_e32 v[88:89], s[30:31], v[92:93]
	;; [unrolled: 1-line block ×6, first 2 shown]
	v_add_f64_e64 v[130:131], v[60:61], -v[64:65]
	v_add_f64_e32 v[60:61], v[24:25], v[22:23]
	s_mov_b32 s39, 0x3fcea1e5
	s_mov_b32 s37, 0x3fea55e2
	;; [unrolled: 1-line block ×4, first 2 shown]
	global_wb scope:SCOPE_SE
	s_wait_dscnt 0x0
	s_barrier_signal -1
	v_mul_f64_e32 v[102:103], s[30:31], v[104:105]
	v_mul_f64_e32 v[100:101], s[42:43], v[104:105]
	;; [unrolled: 1-line block ×6, first 2 shown]
	s_barrier_wait -1
	global_inv scope:SCOPE_SE
	v_mul_f64_e32 v[112:113], s[34:35], v[118:119]
	v_mul_f64_e32 v[110:111], s[46:47], v[118:119]
	;; [unrolled: 1-line block ×8, first 2 shown]
	v_fma_f64 v[56:57], v[78:79], s[26:27], v[90:91]
	v_fma_f64 v[58:59], v[78:79], s[10:11], v[88:89]
	;; [unrolled: 1-line block ×9, first 2 shown]
	s_wait_alu 0xfffe
	v_fma_f64 v[138:139], v[116:117], s[24:25], v[96:97]
	v_fma_f64 v[140:141], v[116:117], s[18:19], v[94:95]
	;; [unrolled: 1-line block ×9, first 2 shown]
	v_add_f64_e32 v[56:57], v[0:1], v[56:57]
	v_add_f64_e32 v[58:59], v[0:1], v[58:59]
	;; [unrolled: 1-line block ×6, first 2 shown]
	v_mul_f64_e32 v[126:127], s[44:45], v[62:63]
	v_mul_f64_e32 v[124:125], s[28:29], v[62:63]
	;; [unrolled: 1-line block ×4, first 2 shown]
	v_fma_f64 v[62:63], v[114:115], s[20:21], v[112:113]
	v_add_f64_e32 v[56:57], v[132:133], v[56:57]
	v_add_f64_e32 v[58:59], v[134:135], v[58:59]
	;; [unrolled: 1-line block ×6, first 2 shown]
	v_add_f64_e64 v[150:151], v[74:75], -v[76:77]
	v_add_f64_e32 v[148:149], v[32:33], v[18:19]
	v_mul_f64_e32 v[138:139], s[44:45], v[60:61]
	v_mul_f64_e32 v[136:137], s[34:35], v[60:61]
	;; [unrolled: 1-line block ×6, first 2 shown]
	v_fma_f64 v[60:61], v[130:131], s[4:5], v[128:129]
	v_fma_f64 v[170:171], v[130:131], s[24:25], v[126:127]
	v_fma_f64 v[172:173], v[130:131], s[22:23], v[124:125]
	v_fma_f64 v[174:175], v[130:131], s[20:21], v[122:123]
	v_fma_f64 v[176:177], v[130:131], s[38:39], v[120:121]
	v_add_f64_e32 v[56:57], v[62:63], v[56:57]
	v_add_f64_e32 v[58:59], v[64:65], v[58:59]
	;; [unrolled: 1-line block ×6, first 2 shown]
	v_add_f64_e64 v[152:153], v[28:29], -v[68:69]
	v_mul_f64_e32 v[68:69], s[46:47], v[148:149]
	v_mul_f64_e32 v[140:141], s[28:29], v[148:149]
	;; [unrolled: 1-line block ×6, first 2 shown]
	v_fma_f64 v[28:29], v[150:151], s[12:13], v[138:139]
	v_fma_f64 v[168:169], v[150:151], s[18:19], v[136:137]
	;; [unrolled: 1-line block ×6, first 2 shown]
	v_add_f64_e32 v[56:57], v[60:61], v[56:57]
	v_add_f64_e32 v[58:59], v[170:171], v[58:59]
	;; [unrolled: 1-line block ×6, first 2 shown]
	v_fma_f64 v[166:167], v[152:153], s[14:15], v[68:69]
	v_fma_f64 v[170:171], v[152:153], s[22:23], v[140:141]
	;; [unrolled: 1-line block ×6, first 2 shown]
	v_add_f64_e32 v[28:29], v[28:29], v[56:57]
	v_add_f64_e32 v[58:59], v[168:169], v[58:59]
	;; [unrolled: 1-line block ×12, first 2 shown]
	s_and_saveexec_b32 s28, s0
	s_cbranch_execz .LBB0_29
; %bb.28:
	v_add_f64_e32 v[50:51], v[0:1], v[50:51]
	v_mul_f64_e32 v[164:165], s[4:5], v[78:79]
	v_mul_f64_e32 v[166:167], s[12:13], v[78:79]
	;; [unrolled: 1-line block ×6, first 2 shown]
	v_add_f64_e32 v[50:51], v[50:51], v[52:53]
	v_mul_f64_e32 v[52:53], s[20:21], v[78:79]
	v_add_f64_e64 v[84:85], v[84:85], -v[164:165]
	v_add_f64_e64 v[82:83], v[82:83], -v[166:167]
	;; [unrolled: 1-line block ×6, first 2 shown]
	v_mul_f64_e32 v[164:165], s[38:39], v[130:131]
	v_add_f64_e32 v[46:47], v[50:51], v[46:47]
	v_mul_f64_e32 v[50:51], s[10:11], v[78:79]
	v_add_f64_e64 v[52:53], v[86:87], -v[52:53]
	v_mul_f64_e32 v[86:87], s[40:41], v[114:115]
	v_add_f64_e32 v[84:85], v[0:1], v[84:85]
	v_add_f64_e32 v[82:83], v[0:1], v[82:83]
	;; [unrolled: 1-line block ×3, first 2 shown]
	v_mul_f64_e32 v[46:47], s[26:27], v[78:79]
	v_mul_f64_e32 v[78:79], s[14:15], v[78:79]
	v_add_f64_e64 v[50:51], v[88:89], -v[50:51]
	v_add_f64_e32 v[52:53], v[0:1], v[52:53]
	v_mul_f64_e32 v[88:89], s[22:23], v[114:115]
	v_add_f64_e64 v[86:87], v[108:109], -v[86:87]
	v_add_f64_e32 v[82:83], v[94:95], v[82:83]
	v_mul_f64_e32 v[94:95], s[38:39], v[150:151]
	v_add_f64_e32 v[24:25], v[26:27], v[24:25]
	v_mul_f64_e32 v[26:27], s[10:11], v[116:117]
	v_add_f64_e64 v[46:47], v[90:91], -v[46:47]
	v_mul_f64_e32 v[116:117], s[22:23], v[116:117]
	v_add_f64_e64 v[78:79], v[80:81], -v[78:79]
	v_mul_f64_e32 v[80:81], s[14:15], v[114:115]
	v_add_f64_e32 v[50:51], v[0:1], v[50:51]
	v_mul_f64_e32 v[90:91], s[10:11], v[114:115]
	v_add_f64_e64 v[88:89], v[106:107], -v[88:89]
	v_add_f64_e32 v[24:25], v[24:25], v[32:33]
	v_mul_f64_e32 v[32:33], s[20:21], v[114:115]
	v_add_f64_e64 v[26:27], v[102:103], -v[26:27]
	;; [unrolled: 3-line block ×3, first 2 shown]
	v_add_f64_e32 v[0:1], v[0:1], v[78:79]
	v_mul_f64_e32 v[78:79], s[24:25], v[130:131]
	v_mul_f64_e32 v[102:103], s[22:23], v[130:131]
	v_add_f64_e64 v[80:81], v[110:111], -v[80:81]
	v_mul_f64_e32 v[116:117], s[20:21], v[130:131]
	v_add_f64_e64 v[90:91], v[104:105], -v[90:91]
	v_add_f64_e64 v[104:105], v[120:121], -v[164:165]
	v_add_f64_e32 v[18:19], v[24:25], v[18:19]
	v_mul_f64_e32 v[24:25], s[4:5], v[130:131]
	v_add_f64_e64 v[32:33], v[112:113], -v[32:33]
	v_add_f64_e32 v[26:27], v[26:27], v[46:47]
	v_add_f64_e32 v[46:47], v[100:101], v[50:51]
	;; [unrolled: 1-line block ×4, first 2 shown]
	v_mul_f64_e32 v[130:131], s[36:37], v[130:131]
	v_add_f64_e64 v[66:67], v[66:67], -v[114:115]
	v_add_f64_e32 v[0:1], v[92:93], v[0:1]
	v_mul_f64_e32 v[84:85], s[18:19], v[150:151]
	v_mul_f64_e32 v[92:93], s[10:11], v[150:151]
	v_add_f64_e64 v[78:79], v[126:127], -v[78:79]
	v_add_f64_e64 v[100:101], v[124:125], -v[102:103]
	v_mul_f64_e32 v[96:97], s[22:23], v[150:151]
	v_add_f64_e64 v[102:103], v[122:123], -v[116:117]
	v_mul_f64_e32 v[98:99], s[4:5], v[150:151]
	v_add_f64_e32 v[18:19], v[18:19], v[22:23]
	v_mul_f64_e32 v[22:23], s[12:13], v[150:151]
	v_add_f64_e64 v[24:25], v[128:129], -v[24:25]
	v_add_f64_e32 v[26:27], v[32:33], v[26:27]
	v_add_f64_e32 v[32:33], v[80:81], v[46:47]
	;; [unrolled: 1-line block ×5, first 2 shown]
	v_add_f64_e64 v[106:107], v[118:119], -v[130:131]
	v_add_f64_e32 v[0:1], v[66:67], v[0:1]
	v_mul_f64_e32 v[66:67], s[22:23], v[152:153]
	v_mul_f64_e32 v[80:81], s[12:13], v[152:153]
	v_add_f64_e64 v[84:85], v[136:137], -v[84:85]
	v_add_f64_e64 v[90:91], v[134:135], -v[92:93]
	v_mul_f64_e32 v[82:83], s[36:37], v[152:153]
	v_mul_f64_e32 v[86:87], s[4:5], v[152:153]
	v_add_f64_e64 v[92:93], v[132:133], -v[94:95]
	v_add_f64_e64 v[76:77], v[76:77], -v[96:97]
	v_mul_f64_e32 v[88:89], s[18:19], v[152:153]
	v_add_f64_e64 v[74:75], v[74:75], -v[98:99]
	v_add_f64_e32 v[18:19], v[18:19], v[20:21]
	v_mul_f64_e32 v[20:21], s[14:15], v[152:153]
	v_add_f64_e64 v[22:23], v[138:139], -v[22:23]
	v_add_f64_e32 v[24:25], v[24:25], v[26:27]
	v_add_f64_e32 v[26:27], v[78:79], v[32:33]
	;; [unrolled: 1-line block ×6, first 2 shown]
	v_add_f64_e64 v[52:53], v[142:143], -v[80:81]
	v_add_f64_e64 v[78:79], v[148:149], -v[88:89]
	v_add_f64_e32 v[18:19], v[18:19], v[42:43]
	v_add_f64_e64 v[20:21], v[68:69], -v[20:21]
	v_add_f64_e64 v[42:43], v[140:141], -v[66:67]
	v_add_f64_e32 v[22:23], v[22:23], v[24:25]
	v_add_f64_e32 v[24:25], v[84:85], v[26:27]
	;; [unrolled: 1-line block ×3, first 2 shown]
	v_add_f64_e64 v[66:67], v[144:145], -v[82:83]
	v_add_f64_e64 v[68:69], v[146:147], -v[86:87]
	v_add_f64_e32 v[32:33], v[92:93], v[46:47]
	v_add_f64_e32 v[46:47], v[76:77], v[50:51]
	;; [unrolled: 1-line block ×4, first 2 shown]
	v_mul_u32_u24_e32 v40, 26, v163
	v_add_f64_e32 v[20:21], v[20:21], v[22:23]
	v_add_f64_e32 v[22:23], v[42:43], v[24:25]
	;; [unrolled: 1-line block ×3, first 2 shown]
	s_delay_alu instid0(VALU_DEP_4) | instskip(SKIP_3) | instid1(VALU_DEP_4)
	v_or_b32_e32 v40, v40, v162
	v_add_f64_e32 v[26:27], v[66:67], v[32:33]
	v_add_f64_e32 v[32:33], v[68:69], v[46:47]
	v_add_f64_e32 v[0:1], v[78:79], v[0:1]
	v_lshl_add_u32 v40, v40, 3, 0
	v_add_f64_e32 v[18:19], v[18:19], v[48:49]
	ds_store_2addr_b64 v40, v[64:65], v[62:63] offset0:16 offset1:18
	ds_store_2addr_b64 v40, v[60:61], v[58:59] offset0:20 offset1:22
	;; [unrolled: 1-line block ×5, first 2 shown]
	ds_store_2addr_b64 v40, v[18:19], v[20:21] offset1:2
	ds_store_b64 v40, v[56:57] offset:192
.LBB0_29:
	s_wait_alu 0xfffe
	s_or_b32 exec_lo, exec_lo, s28
	global_wb scope:SCOPE_SE
	s_wait_dscnt 0x0
	s_barrier_signal -1
	s_barrier_wait -1
	global_inv scope:SCOPE_SE
	ds_load_b64 v[0:1], v160
	ds_load_b64 v[42:43], v160 offset:2288
	ds_load_b64 v[26:27], v160 offset:4576
	;; [unrolled: 1-line block ×6, first 2 shown]
                                        ; implicit-def: $vgpr18_vgpr19
	s_and_saveexec_b32 s0, s1
	s_cbranch_execz .LBB0_31
; %bb.30:
	ds_load_b64 v[64:65], v160 offset:3744
	ds_load_b64 v[62:63], v160 offset:6032
	;; [unrolled: 1-line block ×5, first 2 shown]
	ds_load_b64 v[28:29], v161
	ds_load_b64 v[18:19], v160 offset:15184
.LBB0_31:
	s_wait_alu 0xfffe
	s_or_b32 exec_lo, exec_lo, s0
	v_and_b32_e32 v20, 0xff, v155
	s_mov_b32 s4, 0x37e14327
	s_mov_b32 s12, 0xe976ee23
	;; [unrolled: 1-line block ×4, first 2 shown]
	v_mul_lo_u16 v20, 0x4f, v20
	s_mov_b32 s10, 0x429ad128
	s_mov_b32 s14, 0x36b3c0b5
	;; [unrolled: 1-line block ×4, first 2 shown]
	v_lshrrev_b16 v122, 11, v20
	s_mov_b32 s18, 0xaaaaaaaa
	s_mov_b32 s24, 0xb247c609
	;; [unrolled: 1-line block ×4, first 2 shown]
	v_mul_lo_u16 v20, v122, 26
	s_mov_b32 s25, 0xbfd5d0dc
	s_mov_b32 s21, 0x3fe77f67
	;; [unrolled: 1-line block ×4, first 2 shown]
	v_sub_nc_u16 v20, v155, v20
	s_wait_alu 0xfffe
	s_mov_b32 s22, s20
	s_mov_b32 s26, s24
	;; [unrolled: 1-line block ×4, first 2 shown]
	v_and_b32_e32 v123, 0xff, v20
	s_delay_alu instid0(VALU_DEP_1) | instskip(NEXT) | instid1(VALU_DEP_1)
	v_mul_u32_u24_e32 v20, 6, v123
	v_lshlrev_b32_e32 v20, 4, v20
	s_clause 0x5
	global_load_b128 v[66:69], v20, s[8:9] offset:384
	global_load_b128 v[74:77], v20, s[8:9] offset:400
	global_load_b128 v[78:81], v20, s[8:9] offset:464
	global_load_b128 v[82:85], v20, s[8:9] offset:448
	global_load_b128 v[86:89], v20, s[8:9] offset:416
	global_load_b128 v[90:93], v20, s[8:9] offset:432
	v_and_b32_e32 v20, 0xffff, v159
	s_delay_alu instid0(VALU_DEP_1) | instskip(NEXT) | instid1(VALU_DEP_1)
	v_mul_u32_u24_e32 v20, 0x4ec5, v20
	v_lshrrev_b32_e32 v124, 19, v20
	s_delay_alu instid0(VALU_DEP_1) | instskip(NEXT) | instid1(VALU_DEP_1)
	v_mul_lo_u16 v20, v124, 26
	v_sub_nc_u16 v20, v159, v20
	s_delay_alu instid0(VALU_DEP_1) | instskip(NEXT) | instid1(VALU_DEP_1)
	v_and_b32_e32 v125, 0xffff, v20
	v_mul_u32_u24_e32 v20, 6, v125
	s_delay_alu instid0(VALU_DEP_1)
	v_lshlrev_b32_e32 v20, 4, v20
	s_clause 0x5
	global_load_b128 v[94:97], v20, s[8:9] offset:384
	global_load_b128 v[98:101], v20, s[8:9] offset:400
	;; [unrolled: 1-line block ×6, first 2 shown]
	global_wb scope:SCOPE_SE
	s_wait_loadcnt_dscnt 0x0
	s_barrier_signal -1
	s_barrier_wait -1
	global_inv scope:SCOPE_SE
	v_mul_f64_e32 v[20:21], v[42:43], v[68:69]
	v_mul_f64_e32 v[22:23], v[26:27], v[76:77]
	;; [unrolled: 1-line block ×12, first 2 shown]
	v_fma_f64 v[20:21], v[36:37], v[66:67], v[20:21]
	v_fma_f64 v[24:25], v[38:39], v[74:75], v[22:23]
	;; [unrolled: 1-line block ×4, first 2 shown]
	v_fma_f64 v[36:37], v[26:27], v[74:75], -v[76:77]
	v_fma_f64 v[26:27], v[34:35], v[86:87], v[118:119]
	v_fma_f64 v[34:35], v[40:41], v[86:87], -v[88:89]
	v_fma_f64 v[30:31], v[30:31], v[90:91], v[120:121]
	v_fma_f64 v[40:41], v[50:51], v[82:83], -v[84:85]
	v_fma_f64 v[38:39], v[46:47], v[90:91], -v[92:93]
	;; [unrolled: 1-line block ×4, first 2 shown]
	v_mul_f64_e32 v[84:85], v[60:61], v[104:105]
	v_mul_f64_e32 v[86:87], v[10:11], v[104:105]
	;; [unrolled: 1-line block ×5, first 2 shown]
	v_add_f64_e32 v[46:47], v[20:21], v[22:23]
	v_add_f64_e32 v[48:49], v[24:25], v[32:33]
	;; [unrolled: 1-line block ×3, first 2 shown]
	v_add_f64_e64 v[50:51], v[36:37], -v[40:41]
	v_add_f64_e64 v[54:55], v[38:39], -v[34:35]
	;; [unrolled: 1-line block ×3, first 2 shown]
	v_add_f64_e32 v[68:69], v[48:49], v[46:47]
	v_add_f64_e64 v[74:75], v[46:47], -v[52:53]
	s_delay_alu instid0(VALU_DEP_4) | instskip(NEXT) | instid1(VALU_DEP_4)
	v_add_f64_e64 v[76:77], v[54:55], -v[50:51]
	v_add_f64_e64 v[78:79], v[50:51], -v[66:67]
	v_add_f64_e32 v[50:51], v[54:55], v[50:51]
	v_add_f64_e64 v[54:55], v[66:67], -v[54:55]
	v_add_f64_e32 v[68:69], v[52:53], v[68:69]
	v_add_f64_e64 v[52:53], v[52:53], -v[48:49]
	v_mul_f64_e32 v[74:75], s[4:5], v[74:75]
	v_mul_f64_e32 v[76:77], s[12:13], v[76:77]
	;; [unrolled: 1-line block ×3, first 2 shown]
	v_add_f64_e32 v[82:83], v[16:17], v[68:69]
	v_add_f64_e64 v[16:17], v[48:49], -v[46:47]
	v_mul_f64_e32 v[46:47], s[14:15], v[52:53]
	v_add_f64_e32 v[48:49], v[50:51], v[66:67]
	v_fma_f64 v[50:51], v[52:53], s[14:15], v[74:75]
	v_fma_f64 v[52:53], v[54:55], s[24:25], v[76:77]
	v_fma_f64 v[66:67], v[78:79], s[10:11], -v[76:77]
	s_wait_alu 0xfffe
	v_fma_f64 v[54:55], v[54:55], s[26:27], -v[80:81]
	v_mul_f64_e32 v[76:77], v[14:15], v[96:97]
	v_mul_f64_e32 v[78:79], v[62:63], v[100:101]
	;; [unrolled: 1-line block ×5, first 2 shown]
	v_fma_f64 v[68:69], v[68:69], s[18:19], v[82:83]
	v_fma_f64 v[74:75], v[16:17], s[22:23], -v[74:75]
	v_fma_f64 v[16:17], v[16:17], s[20:21], -v[46:47]
	v_mul_f64_e32 v[46:47], v[64:65], v[96:97]
	v_mul_f64_e32 v[96:97], v[6:7], v[112:113]
	v_fma_f64 v[52:53], v[48:49], s[28:29], v[52:53]
	v_fma_f64 v[104:105], v[48:49], s[28:29], v[66:67]
	;; [unrolled: 1-line block ×3, first 2 shown]
	v_fma_f64 v[48:49], v[64:65], v[94:95], -v[76:77]
	v_fma_f64 v[12:13], v[12:13], v[98:99], v[78:79]
	v_fma_f64 v[54:55], v[60:61], v[102:103], -v[86:87]
	v_fma_f64 v[64:65], v[58:59], v[106:107], -v[90:91]
	v_fma_f64 v[66:67], v[6:7], v[110:111], v[92:93]
	v_fma_f64 v[18:19], v[18:19], v[114:115], -v[116:117]
	v_and_b32_e32 v58, 0xffff, v122
	v_lshlrev_b32_e32 v59, 3, v123
	v_mul_lo_u16 v79, 0xb6, v124
	v_lshlrev_b32_e32 v78, 3, v125
	s_delay_alu instid0(VALU_DEP_4)
	v_mul_u32_u24_e32 v58, 0x5b0, v58
	v_add_f64_e32 v[112:113], v[50:51], v[68:69]
	v_add_f64_e32 v[118:119], v[74:75], v[68:69]
	;; [unrolled: 1-line block ×3, first 2 shown]
	v_fma_f64 v[14:15], v[14:15], v[94:95], v[46:47]
	v_fma_f64 v[50:51], v[62:63], v[98:99], -v[80:81]
	v_fma_f64 v[16:17], v[10:11], v[102:103], v[84:85]
	v_fma_f64 v[46:47], v[8:9], v[106:107], v[88:89]
	v_fma_f64 v[74:75], v[56:57], v[110:111], -v[96:97]
	v_fma_f64 v[68:69], v[4:5], v[114:115], v[100:101]
	v_add3_u32 v80, 0, v58, v59
	v_add_f64_e32 v[4:5], v[52:53], v[112:113]
	v_add_f64_e32 v[6:7], v[108:109], v[118:119]
	v_add_f64_e64 v[8:9], v[120:121], -v[104:105]
	v_add_f64_e32 v[10:11], v[104:105], v[120:121]
	v_add_f64_e64 v[56:57], v[118:119], -v[108:109]
	v_add_f64_e64 v[52:53], v[112:113], -v[52:53]
	ds_store_2addr_b64 v80, v[82:83], v[4:5] offset1:26
	ds_store_2addr_b64 v80, v[6:7], v[8:9] offset0:52 offset1:78
	ds_store_2addr_b64 v80, v[10:11], v[56:57] offset0:104 offset1:130
	ds_store_b64 v80, v[52:53] offset:1248
	s_and_saveexec_b32 s0, s1
	s_cbranch_execz .LBB0_33
; %bb.32:
	v_add_f64_e32 v[4:5], v[12:13], v[66:67]
	v_add_f64_e32 v[6:7], v[14:15], v[68:69]
	v_add_f64_e64 v[8:9], v[64:65], -v[54:55]
	v_add_f64_e64 v[10:11], v[50:51], -v[74:75]
	v_add_f64_e32 v[52:53], v[16:17], v[46:47]
	v_add_f64_e64 v[56:57], v[48:49], -v[18:19]
	v_add_f64_e32 v[58:59], v[4:5], v[6:7]
	s_delay_alu instid0(VALU_DEP_4) | instskip(NEXT) | instid1(VALU_DEP_4)
	v_add_f64_e64 v[60:61], v[8:9], -v[10:11]
	v_add_f64_e64 v[62:63], v[6:7], -v[52:53]
	s_delay_alu instid0(VALU_DEP_4)
	v_add_f64_e64 v[76:77], v[10:11], -v[56:57]
	v_add_f64_e32 v[10:11], v[8:9], v[10:11]
	v_add_f64_e64 v[8:9], v[56:57], -v[8:9]
	v_add_f64_e32 v[58:59], v[52:53], v[58:59]
	v_add_f64_e64 v[52:53], v[52:53], -v[4:5]
	v_add_f64_e64 v[4:5], v[4:5], -v[6:7]
	v_mul_f64_e32 v[6:7], s[12:13], v[60:61]
	v_mul_f64_e32 v[60:61], s[4:5], v[62:63]
	;; [unrolled: 1-line block ×3, first 2 shown]
	v_add_f64_e32 v[10:11], v[10:11], v[56:57]
	v_add_f64_e32 v[2:3], v[2:3], v[58:59]
	v_mul_f64_e32 v[81:82], s[14:15], v[52:53]
	v_fma_f64 v[56:57], v[8:9], s[24:25], v[6:7]
	v_fma_f64 v[52:53], v[52:53], s[14:15], v[60:61]
	v_fma_f64 v[83:84], v[4:5], s[22:23], -v[60:61]
	v_fma_f64 v[8:9], v[8:9], s[26:27], -v[62:63]
	;; [unrolled: 1-line block ×3, first 2 shown]
	v_fma_f64 v[58:59], v[58:59], s[18:19], v[2:3]
	v_fma_f64 v[4:5], v[4:5], s[20:21], -v[81:82]
	v_fma_f64 v[56:57], v[10:11], s[28:29], v[56:57]
	v_fma_f64 v[8:9], v[10:11], s[28:29], v[8:9]
	;; [unrolled: 1-line block ×3, first 2 shown]
	v_add_f64_e32 v[52:53], v[52:53], v[58:59]
	v_add_f64_e32 v[10:11], v[83:84], v[58:59]
	;; [unrolled: 1-line block ×3, first 2 shown]
	s_delay_alu instid0(VALU_DEP_3) | instskip(NEXT) | instid1(VALU_DEP_3)
	v_add_f64_e32 v[62:63], v[56:57], v[52:53]
	v_add_f64_e64 v[58:59], v[10:11], -v[8:9]
	s_delay_alu instid0(VALU_DEP_3) | instskip(SKIP_4) | instid1(VALU_DEP_1)
	v_add_f64_e64 v[60:61], v[4:5], -v[6:7]
	v_add_f64_e32 v[8:9], v[8:9], v[10:11]
	v_add_f64_e32 v[4:5], v[6:7], v[4:5]
	v_add_f64_e64 v[6:7], v[52:53], -v[56:57]
	v_and_b32_e32 v10, 0xffff, v79
	v_lshlrev_b32_e32 v10, 3, v10
	s_delay_alu instid0(VALU_DEP_1)
	v_add3_u32 v10, 0, v78, v10
	ds_store_2addr_b64 v10, v[2:3], v[62:63] offset1:26
	ds_store_2addr_b64 v10, v[8:9], v[60:61] offset0:52 offset1:78
	ds_store_2addr_b64 v10, v[4:5], v[58:59] offset0:104 offset1:130
	ds_store_b64 v10, v[6:7] offset:1248
.LBB0_33:
	s_wait_alu 0xfffe
	s_or_b32 exec_lo, exec_lo, s0
	v_add_f64_e32 v[2:3], v[42:43], v[44:45]
	v_add_f64_e32 v[4:5], v[36:37], v[40:41]
	v_add_f64_e64 v[6:7], v[24:25], -v[32:33]
	v_add_f64_e32 v[8:9], v[34:35], v[38:39]
	v_add_f64_e64 v[10:11], v[30:31], -v[26:27]
	v_add_f64_e64 v[20:21], v[20:21], -v[22:23]
	v_lshl_add_u32 v76, v156, 3, 0
	v_lshl_add_u32 v77, v157, 3, 0
	;; [unrolled: 1-line block ×3, first 2 shown]
	global_wb scope:SCOPE_SE
	s_wait_dscnt 0x0
	s_barrier_signal -1
	s_barrier_wait -1
	global_inv scope:SCOPE_SE
	ds_load_b64 v[62:63], v161
	v_add_f64_e32 v[22:23], v[4:5], v[2:3]
	v_add_f64_e64 v[24:25], v[2:3], -v[8:9]
	v_add_f64_e64 v[26:27], v[10:11], -v[6:7]
	;; [unrolled: 1-line block ×3, first 2 shown]
	v_add_f64_e32 v[6:7], v[10:11], v[6:7]
	v_add_f64_e64 v[10:11], v[20:21], -v[10:11]
	v_add_f64_e32 v[22:23], v[8:9], v[22:23]
	v_add_f64_e64 v[8:9], v[8:9], -v[4:5]
	v_mul_f64_e32 v[24:25], s[4:5], v[24:25]
	v_mul_f64_e32 v[26:27], s[12:13], v[26:27]
	;; [unrolled: 1-line block ×3, first 2 shown]
	v_add_f64_e32 v[34:35], v[0:1], v[22:23]
	v_add_f64_e64 v[0:1], v[4:5], -v[2:3]
	v_mul_f64_e32 v[2:3], s[14:15], v[8:9]
	v_add_f64_e32 v[4:5], v[6:7], v[20:21]
	v_fma_f64 v[6:7], v[8:9], s[14:15], v[24:25]
	v_fma_f64 v[8:9], v[10:11], s[24:25], v[26:27]
	v_fma_f64 v[20:21], v[30:31], s[10:11], -v[26:27]
	v_fma_f64 v[10:11], v[10:11], s[26:27], -v[32:33]
	v_fma_f64 v[22:23], v[22:23], s[18:19], v[34:35]
	v_fma_f64 v[24:25], v[0:1], s[22:23], -v[24:25]
	v_fma_f64 v[0:1], v[0:1], s[20:21], -v[2:3]
	v_fma_f64 v[2:3], v[4:5], s[28:29], v[8:9]
	v_fma_f64 v[8:9], v[4:5], s[28:29], v[20:21]
	;; [unrolled: 1-line block ×3, first 2 shown]
	v_add_f64_e32 v[6:7], v[6:7], v[22:23]
	v_add_f64_e32 v[10:11], v[24:25], v[22:23]
	;; [unrolled: 1-line block ×3, first 2 shown]
	s_delay_alu instid0(VALU_DEP_3) | instskip(NEXT) | instid1(VALU_DEP_3)
	v_add_f64_e64 v[20:21], v[6:7], -v[2:3]
	v_add_f64_e64 v[22:23], v[10:11], -v[4:5]
	s_delay_alu instid0(VALU_DEP_3)
	v_add_f64_e32 v[24:25], v[8:9], v[0:1]
	v_add_f64_e64 v[26:27], v[0:1], -v[8:9]
	v_add_f64_e32 v[30:31], v[4:5], v[10:11]
	v_add_f64_e32 v[32:33], v[2:3], v[6:7]
	v_add_nc_u32_e32 v0, 0x1c00, v160
	v_add_nc_u32_e32 v1, 0x2600, v160
	v_add_nc_u32_e32 v2, 0x3200, v160
	ds_load_b64 v[52:53], v160
	ds_load_b64 v[60:61], v76
	;; [unrolled: 1-line block ×4, first 2 shown]
	ds_load_2addr_b64 v[4:7], v0 offset0:14 offset1:196
	ds_load_2addr_b64 v[8:11], v1 offset0:58 offset1:240
	;; [unrolled: 1-line block ×3, first 2 shown]
	global_wb scope:SCOPE_SE
	s_wait_dscnt 0x0
	s_barrier_signal -1
	s_barrier_wait -1
	global_inv scope:SCOPE_SE
	ds_store_2addr_b64 v80, v[34:35], v[20:21] offset1:26
	ds_store_2addr_b64 v80, v[22:23], v[24:25] offset0:52 offset1:78
	ds_store_2addr_b64 v80, v[26:27], v[30:31] offset0:104 offset1:130
	ds_store_b64 v80, v[32:33] offset:1248
	s_and_saveexec_b32 s0, s1
	s_cbranch_execz .LBB0_35
; %bb.34:
	v_add_f64_e32 v[18:19], v[48:49], v[18:19]
	v_add_f64_e32 v[20:21], v[50:51], v[74:75]
	;; [unrolled: 1-line block ×3, first 2 shown]
	v_add_f64_e64 v[12:13], v[12:13], -v[66:67]
	v_add_f64_e64 v[16:17], v[46:47], -v[16:17]
	;; [unrolled: 1-line block ×3, first 2 shown]
	s_mov_b32 s10, 0x36b3c0b5
	s_mov_b32 s11, 0x3fac98ee
	;; [unrolled: 1-line block ×6, first 2 shown]
	v_add_f64_e32 v[24:25], v[20:21], v[18:19]
	v_add_f64_e64 v[26:27], v[18:19], -v[22:23]
	v_add_f64_e64 v[30:31], v[22:23], -v[20:21]
	;; [unrolled: 1-line block ×5, first 2 shown]
	v_add_f64_e32 v[12:13], v[16:17], v[12:13]
	v_add_f64_e64 v[16:17], v[14:15], -v[16:17]
	v_add_f64_e32 v[22:23], v[22:23], v[24:25]
	v_mul_f64_e32 v[20:21], s[4:5], v[26:27]
	s_mov_b32 s4, 0x429ad128
	s_wait_alu 0xfffe
	v_mul_f64_e32 v[24:25], s[10:11], v[30:31]
	v_mul_f64_e32 v[26:27], s[12:13], v[32:33]
	s_mov_b32 s5, 0xbfebfeb5
	s_mov_b32 s12, 0xaaaaaaaa
	s_wait_alu 0xfffe
	v_mul_f64_e32 v[32:33], s[4:5], v[34:35]
	s_mov_b32 s13, 0xbff2aaaa
	v_add_f64_e32 v[12:13], v[12:13], v[14:15]
	v_add_f64_e32 v[28:29], v[28:29], v[22:23]
	v_fma_f64 v[14:15], v[30:31], s[10:11], v[20:21]
	v_fma_f64 v[24:25], v[18:19], s[14:15], -v[24:25]
	s_mov_b32 s15, 0xbfe77f67
	v_fma_f64 v[30:31], v[16:17], s[18:19], v[26:27]
	s_mov_b32 s19, 0x3fd5d0dc
	v_fma_f64 v[26:27], v[34:35], s[4:5], -v[26:27]
	s_wait_alu 0xfffe
	v_fma_f64 v[16:17], v[16:17], s[18:19], -v[32:33]
	v_fma_f64 v[18:19], v[18:19], s[14:15], -v[20:21]
	s_mov_b32 s4, 0x37c3f68c
	s_mov_b32 s5, 0xbfdc38aa
	v_fma_f64 v[22:23], v[22:23], s[12:13], v[28:29]
	s_wait_alu 0xfffe
	v_fma_f64 v[20:21], v[12:13], s[4:5], v[30:31]
	v_fma_f64 v[26:27], v[12:13], s[4:5], v[26:27]
	;; [unrolled: 1-line block ×3, first 2 shown]
	s_delay_alu instid0(VALU_DEP_4) | instskip(SKIP_2) | instid1(VALU_DEP_3)
	v_add_f64_e32 v[14:15], v[14:15], v[22:23]
	v_add_f64_e32 v[16:17], v[18:19], v[22:23]
	;; [unrolled: 1-line block ×3, first 2 shown]
	v_add_f64_e64 v[22:23], v[14:15], -v[20:21]
	s_delay_alu instid0(VALU_DEP_3) | instskip(NEXT) | instid1(VALU_DEP_3)
	v_add_f64_e64 v[24:25], v[16:17], -v[12:13]
	v_add_f64_e32 v[30:31], v[26:27], v[18:19]
	v_add_f64_e64 v[18:19], v[18:19], -v[26:27]
	v_add_f64_e32 v[12:13], v[12:13], v[16:17]
	v_add_f64_e32 v[14:15], v[20:21], v[14:15]
	v_and_b32_e32 v16, 0xffff, v79
	s_delay_alu instid0(VALU_DEP_1) | instskip(NEXT) | instid1(VALU_DEP_1)
	v_lshlrev_b32_e32 v16, 3, v16
	v_add3_u32 v16, 0, v78, v16
	ds_store_2addr_b64 v16, v[28:29], v[22:23] offset1:26
	ds_store_2addr_b64 v16, v[24:25], v[30:31] offset0:52 offset1:78
	ds_store_2addr_b64 v16, v[18:19], v[12:13] offset0:104 offset1:130
	ds_store_b64 v16, v[14:15] offset:1248
.LBB0_35:
	s_wait_alu 0xfffe
	s_or_b32 exec_lo, exec_lo, s0
	global_wb scope:SCOPE_SE
	s_wait_dscnt 0x0
	s_barrier_signal -1
	s_barrier_wait -1
	global_inv scope:SCOPE_SE
	s_and_saveexec_b32 s0, vcc_lo
	s_cbranch_execz .LBB0_37
; %bb.36:
	v_mul_u32_u24_e32 v12, 10, v155
	v_mul_lo_u32 v78, s3, v72
	v_mul_lo_u32 v79, s2, v73
	v_mad_co_u64_u32 v[72:73], null, s2, v72, 0
	s_delay_alu instid0(VALU_DEP_4)
	v_lshlrev_b32_e32 v16, 4, v12
	v_add_nc_u32_e32 v140, 0x444, v154
	v_add_nc_u32_e32 v144, 0x71c, v154
	;; [unrolled: 1-line block ×3, first 2 shown]
	v_lshlrev_b64_e32 v[70:71], 4, v[70:71]
	s_clause 0x9
	global_load_b128 v[48:51], v16, s[8:9] offset:2880
	global_load_b128 v[44:47], v16, s[8:9] offset:2896
	;; [unrolled: 1-line block ×10, first 2 shown]
	v_add3_u32 v73, v73, v79, v78
	ds_load_b64 v[64:65], v83
	ds_load_b64 v[66:67], v77
	;; [unrolled: 1-line block ×5, first 2 shown]
	v_mad_co_u64_u32 v[105:106], null, s16, v140, 0
	v_add_nc_u32_e32 v136, 0x222, v154
	v_mad_co_u64_u32 v[113:114], null, s16, v144, 0
	v_mad_co_u64_u32 v[76:77], null, s16, v154, 0
	v_add_nc_u32_e32 v143, 0x666, v154
	v_mad_co_u64_u32 v[109:110], null, s16, v142, 0
	v_add_nc_u32_e32 v139, 0x38e, v154
	v_lshlrev_b64_e32 v[72:73], 4, v[72:73]
	s_mov_b32 s12, 0xf8bb580b
	s_mov_b32 s20, 0x43842ef
	;; [unrolled: 1-line block ×7, first 2 shown]
	s_wait_alu 0xfffe
	s_mov_b32 s24, s12
	s_mov_b32 s21, 0xbfefac9e
	;; [unrolled: 1-line block ×12, first 2 shown]
	s_wait_alu 0xfffe
	s_mov_b32 s28, s14
	s_mov_b32 s5, 0xbfc2375f
	;; [unrolled: 1-line block ×7, first 2 shown]
	s_wait_loadcnt 0x9
	v_mul_f64_e32 v[95:96], v[62:63], v[50:51]
	v_mul_f64_e32 v[62:63], v[62:63], v[48:49]
	s_wait_loadcnt 0x8
	v_mul_f64_e32 v[78:79], v[60:61], v[46:47]
	v_mul_f64_e32 v[60:61], v[60:61], v[44:45]
	s_wait_loadcnt 0x5
	v_mul_f64_e32 v[117:118], v[0:1], v[12:13]
	v_mul_f64_e32 v[115:116], v[10:11], v[32:33]
	s_wait_loadcnt 0x3
	v_mul_f64_e32 v[121:122], v[56:57], v[28:29]
	v_mul_f64_e32 v[10:11], v[10:11], v[34:35]
	s_wait_loadcnt 0x1
	v_mul_f64_e32 v[127:128], v[4:5], v[20:21]
	v_mul_f64_e32 v[131:132], v[4:5], v[22:23]
	v_mov_b32_e32 v5, v106
	v_mad_co_u64_u32 v[99:100], null, s16, v136, 0
	v_add_nc_u32_e32 v81, 0x2600, v160
	s_wait_loadcnt 0x0
	v_mul_f64_e32 v[129:130], v[6:7], v[16:17]
	v_mul_f64_e32 v[6:7], v[6:7], v[18:19]
	;; [unrolled: 1-line block ×7, first 2 shown]
	s_wait_dscnt 0x0
	v_fma_f64 v[48:49], v[74:75], v[48:49], -v[95:96]
	v_fma_f64 v[50:51], v[74:75], v[50:51], v[62:63]
	v_mov_b32_e32 v62, v100
	v_mov_b32_e32 v100, v114
	v_mad_co_u64_u32 v[111:112], null, s16, v143, 0
	v_add_nc_u32_e32 v141, 0x4fa, v154
	v_mad_co_u64_u32 v[95:96], null, s17, v154, v[77:78]
	v_add_nc_u32_e32 v138, 0x2d8, v154
	v_mov_b32_e32 v96, v110
	s_delay_alu instid0(VALU_DEP_4) | instskip(SKIP_1) | instid1(VALU_DEP_4)
	v_mad_co_u64_u32 v[107:108], null, s16, v141, 0
	v_add_nc_u32_e32 v135, 0x16c, v154
	v_mad_co_u64_u32 v[101:102], null, s16, v138, 0
	v_mad_co_u64_u32 v[103:104], null, s16, v139, 0
	v_add_nc_u32_e32 v133, 0xb6, v154
	s_delay_alu instid0(VALU_DEP_4)
	v_mad_co_u64_u32 v[97:98], null, s16, v135, 0
	v_add_nc_u32_e32 v80, 0x1c00, v160
	v_dual_mov_b32 v63, v102 :: v_dual_add_nc_u32 v82, 0x3200, v160
	ds_load_2addr_b64 v[83:86], v80 offset0:14 offset1:196
	ds_load_2addr_b64 v[87:90], v81 offset0:58 offset1:240
	;; [unrolled: 1-line block ×3, first 2 shown]
	v_mov_b32_e32 v4, v104
	v_mad_co_u64_u32 v[80:81], null, s16, v133, 0
	v_mov_b32_e32 v82, v108
	v_mul_f64_e32 v[74:75], v[58:59], v[40:41]
	v_mul_f64_e32 v[58:59], v[58:59], v[42:43]
	v_fma_f64 v[44:45], v[68:69], v[44:45], -v[78:79]
	v_fma_f64 v[46:47], v[68:69], v[46:47], v[60:61]
	v_fma_f64 v[28:29], v[64:65], v[28:29], -v[56:57]
	v_mov_b32_e32 v77, v81
	v_dual_mov_b32 v81, v98 :: v_dual_mov_b32 v98, v112
	v_add_f64_e32 v[60:61], v[52:53], v[50:51]
	s_delay_alu instid0(VALU_DEP_3) | instskip(NEXT) | instid1(VALU_DEP_3)
	v_mad_co_u64_u32 v[133:134], null, s17, v133, v[77:78]
	v_mad_co_u64_u32 v[134:135], null, s17, v135, v[81:82]
	;; [unrolled: 1-line block ×3, first 2 shown]
	v_mul_f64_e32 v[136:137], v[0:1], v[14:15]
	v_add_f64_e32 v[78:79], v[54:55], v[48:49]
	v_mov_b32_e32 v77, v95
	v_mad_co_u64_u32 v[62:63], null, s17, v138, v[63:64]
	v_mad_co_u64_u32 v[138:139], null, s17, v139, v[4:5]
	v_mov_b32_e32 v81, v133
	v_mad_co_u64_u32 v[68:69], null, s17, v140, v[5:6]
	s_wait_dscnt 0x0
	v_fma_f64 v[4:5], v[91:92], v[14:15], v[117:118]
	v_fma_f64 v[14:15], v[64:65], v[30:31], v[121:122]
	v_mad_co_u64_u32 v[30:31], null, s17, v141, v[82:83]
	v_fma_f64 v[10:11], v[89:90], v[32:33], -v[10:11]
	v_mad_co_u64_u32 v[31:32], null, s17, v142, v[96:97]
	v_mad_co_u64_u32 v[32:33], null, s17, v143, v[98:99]
	v_add_co_u32 v33, vcc_lo, s6, v72
	v_fma_f64 v[0:1], v[93:94], v[38:39], v[119:120]
	s_wait_alu 0xfffd
	v_add_co_ci_u32_e32 v39, vcc_lo, s7, v73, vcc_lo
	v_fma_f64 v[16:17], v[85:86], v[16:17], -v[6:7]
	v_fma_f64 v[2:3], v[93:94], v[36:37], -v[2:3]
	v_mad_co_u64_u32 v[36:37], null, s17, v144, v[100:101]
	v_fma_f64 v[42:43], v[66:67], v[42:43], v[74:75]
	v_fma_f64 v[8:9], v[89:90], v[34:35], v[115:116]
	v_fma_f64 v[34:35], v[66:67], v[40:41], -v[58:59]
	v_fma_f64 v[26:27], v[87:88], v[26:27], v[123:124]
	v_fma_f64 v[24:25], v[87:88], v[24:25], -v[125:126]
	v_fma_f64 v[22:23], v[83:84], v[22:23], v[127:128]
	v_fma_f64 v[18:19], v[85:86], v[18:19], v[129:130]
	v_fma_f64 v[20:21], v[83:84], v[20:21], -v[131:132]
	v_mov_b32_e32 v102, v62
	v_mov_b32_e32 v106, v68
	v_fma_f64 v[6:7], v[91:92], v[12:13], -v[136:137]
	v_add_co_u32 v12, vcc_lo, v33, v70
	v_add_f64_e32 v[37:38], v[44:45], v[78:79]
	s_wait_alu 0xfffd
	v_add_co_ci_u32_e32 v13, vcc_lo, v39, v71, vcc_lo
	v_add_f64_e32 v[39:40], v[46:47], v[60:61]
	v_mov_b32_e32 v108, v30
	v_mov_b32_e32 v110, v31
	;; [unrolled: 1-line block ×3, first 2 shown]
	v_add_f64_e64 v[58:59], v[46:47], -v[4:5]
	v_mov_b32_e32 v114, v36
	v_mov_b32_e32 v104, v138
	;; [unrolled: 1-line block ×4, first 2 shown]
	v_lshlrev_b64_e32 v[86:87], 4, v[109:110]
	v_lshlrev_b64_e32 v[88:89], 4, v[111:112]
	;; [unrolled: 1-line block ×6, first 2 shown]
	v_add_f64_e64 v[60:61], v[50:51], -v[0:1]
	v_add_f64_e32 v[50:51], v[50:51], v[0:1]
	v_lshlrev_b64_e32 v[84:85], 4, v[107:108]
	v_lshlrev_b64_e32 v[74:75], 4, v[97:98]
	v_add_f64_e64 v[64:65], v[48:49], -v[2:3]
	v_lshlrev_b64_e32 v[78:79], 4, v[101:102]
	v_add_f64_e32 v[46:47], v[46:47], v[4:5]
	v_lshlrev_b64_e32 v[70:71], 4, v[76:77]
	v_add_f64_e64 v[56:57], v[42:43], -v[8:9]
	v_add_f64_e64 v[62:63], v[34:35], -v[10:11]
	;; [unrolled: 1-line block ×4, first 2 shown]
	v_add_f64_e32 v[92:93], v[34:35], v[10:11]
	v_add_f64_e64 v[66:67], v[22:23], -v[18:19]
	v_add_f64_e64 v[68:69], v[20:21], -v[16:17]
	v_add_f64_e32 v[96:97], v[20:21], v[16:17]
	v_lshlrev_b64_e32 v[76:77], 4, v[99:100]
	v_add_f64_e32 v[94:95], v[44:45], v[6:7]
	v_add_f64_e32 v[98:99], v[22:23], v[18:19]
	v_add_co_u32 v70, vcc_lo, v12, v70
	v_add_f64_e32 v[34:35], v[34:35], v[37:38]
	v_add_f64_e64 v[36:37], v[44:45], -v[6:7]
	v_add_f64_e32 v[38:39], v[42:43], v[39:40]
	v_add_f64_e32 v[44:45], v[48:49], v[2:3]
	;; [unrolled: 1-line block ×5, first 2 shown]
	v_mul_f64_e32 v[112:113], s[26:27], v[58:59]
	v_mul_f64_e32 v[102:103], s[12:13], v[58:59]
	s_wait_alu 0xfffe
	v_mul_f64_e32 v[130:131], s[28:29], v[58:59]
	v_mul_f64_e32 v[140:141], s[22:23], v[58:59]
	s_wait_alu 0xfffd
	v_add_co_ci_u32_e32 v71, vcc_lo, v13, v71, vcc_lo
	v_add_co_u32 v72, vcc_lo, v12, v72
	s_wait_alu 0xfffd
	v_add_co_ci_u32_e32 v73, vcc_lo, v13, v73, vcc_lo
	v_mul_f64_e32 v[144:145], s[24:25], v[60:61]
	v_mul_f64_e32 v[114:115], s[22:23], v[60:61]
	;; [unrolled: 1-line block ×15, first 2 shown]
	s_mov_b32 s19, 0xbfed1bb4
	v_mul_f64_e32 v[116:117], s[24:25], v[62:63]
	s_wait_alu 0xfffe
	v_mul_f64_e32 v[60:61], s[18:19], v[60:61]
	v_mul_f64_e32 v[64:65], s[18:19], v[64:65]
	;; [unrolled: 1-line block ×4, first 2 shown]
	v_add_f64_e32 v[28:29], v[28:29], v[34:35]
	v_mul_f64_e32 v[34:35], s[12:13], v[36:37]
	v_add_f64_e32 v[14:15], v[14:15], v[38:39]
	v_mul_f64_e32 v[148:149], s[26:27], v[36:37]
	v_mul_f64_e32 v[150:151], s[28:29], v[36:37]
	v_mul_f64_e32 v[152:153], s[22:23], v[36:37]
	v_mul_f64_e32 v[36:37], s[18:19], v[36:37]
	v_fma_f64 v[186:187], v[94:95], s[4:5], v[112:113]
	v_mul_f64_e32 v[106:107], s[22:23], v[62:63]
	v_mul_f64_e32 v[138:139], s[28:29], v[56:57]
	v_mul_f64_e32 v[142:143], s[28:29], v[62:63]
	v_mul_f64_e32 v[56:57], s[20:21], v[56:57]
	v_mul_f64_e32 v[62:63], s[20:21], v[62:63]
	v_fma_f64 v[176:177], v[94:95], s[8:9], v[102:103]
	v_fma_f64 v[102:103], v[94:95], s[8:9], -v[102:103]
	v_fma_f64 v[204:205], v[94:95], s[0:1], v[140:141]
	v_fma_f64 v[140:141], v[94:95], s[0:1], -v[140:141]
	v_fma_f64 v[196:197], v[44:45], s[8:9], -v[144:145]
	v_fma_f64 v[188:189], v[44:45], s[0:1], v[114:115]
	v_fma_f64 v[178:179], v[44:45], s[10:11], v[104:105]
	v_fma_f64 v[104:105], v[44:45], s[10:11], -v[104:105]
	v_fma_f64 v[198:199], v[50:51], s[8:9], v[146:147]
	v_fma_f64 v[182:183], v[50:51], s[10:11], -v[108:109]
	;; [unrolled: 2-line block ×3, first 2 shown]
	v_fma_f64 v[194:195], v[50:51], s[4:5], -v[136:137]
	v_fma_f64 v[136:137], v[50:51], s[4:5], v[136:137]
	v_fma_f64 v[144:145], v[44:45], s[8:9], v[144:145]
	v_fma_f64 v[146:147], v[50:51], s[8:9], -v[146:147]
	v_fma_f64 v[184:185], v[92:93], s[8:9], v[110:111]
	v_mul_f64_e32 v[154:155], s[14:15], v[30:31]
	v_mul_f64_e32 v[38:39], s[14:15], v[32:33]
	;; [unrolled: 1-line block ×3, first 2 shown]
	v_fma_f64 v[190:191], v[48:49], s[8:9], -v[116:117]
	v_fma_f64 v[200:201], v[44:45], s[2:3], -v[60:61]
	v_fma_f64 v[202:203], v[50:51], s[2:3], v[64:65]
	v_fma_f64 v[210:211], v[94:95], s[2:3], v[58:59]
	v_fma_f64 v[58:59], v[94:95], s[2:3], -v[58:59]
	v_add_f64_e32 v[20:21], v[20:21], v[28:29]
	v_fma_f64 v[28:29], v[92:93], s[8:9], -v[110:111]
	v_add_f64_e32 v[14:15], v[22:23], v[14:15]
	v_fma_f64 v[110:111], v[94:95], s[4:5], -v[112:113]
	v_fma_f64 v[112:113], v[44:45], s[0:1], -v[114:115]
	v_fma_f64 v[114:115], v[48:49], s[8:9], v[116:117]
	v_fma_f64 v[116:117], v[50:51], s[0:1], v[118:119]
	;; [unrolled: 1-line block ×3, first 2 shown]
	v_fma_f64 v[132:133], v[44:45], s[4:5], -v[132:133]
	v_fma_f64 v[44:45], v[44:45], s[2:3], v[60:61]
	v_fma_f64 v[50:51], v[50:51], s[2:3], -v[64:65]
	v_fma_f64 v[22:23], v[94:95], s[10:11], v[130:131]
	v_fma_f64 v[130:131], v[94:95], s[10:11], -v[130:131]
	v_fma_f64 v[94:95], v[46:47], s[2:3], -v[36:37]
	v_fma_f64 v[36:37], v[46:47], s[2:3], v[36:37]
	v_fma_f64 v[208:209], v[46:47], s[0:1], -v[152:153]
	v_fma_f64 v[152:153], v[46:47], s[0:1], v[152:153]
	v_add_f64_e32 v[196:197], v[54:55], v[196:197]
	v_add_f64_e32 v[188:189], v[54:55], v[188:189]
	v_fma_f64 v[60:61], v[46:47], s[8:9], -v[34:35]
	v_add_f64_e32 v[104:105], v[54:55], v[104:105]
	v_add_f64_e32 v[198:199], v[52:53], v[198:199]
	v_fma_f64 v[34:35], v[46:47], s[8:9], v[34:35]
	v_fma_f64 v[206:207], v[46:47], s[4:5], -v[148:149]
	v_fma_f64 v[64:65], v[46:47], s[4:5], v[148:149]
	v_fma_f64 v[148:149], v[46:47], s[10:11], -v[150:151]
	v_fma_f64 v[150:151], v[46:47], s[10:11], v[150:151]
	v_add_f64_e32 v[46:47], v[52:53], v[182:183]
	v_add_f64_e32 v[108:109], v[52:53], v[108:109]
	;; [unrolled: 1-line block ×10, first 2 shown]
	v_mul_f64_e32 v[158:159], s[24:25], v[32:33]
	v_add_f64_e32 v[16:17], v[16:17], v[20:21]
	v_mul_f64_e32 v[160:161], s[26:27], v[30:31]
	v_add_f64_e32 v[14:15], v[18:19], v[14:15]
	;; [unrolled: 2-line block ×4, first 2 shown]
	v_add_f64_e32 v[118:119], v[54:55], v[118:119]
	v_add_f64_e32 v[132:133], v[54:55], v[132:133]
	;; [unrolled: 1-line block ×4, first 2 shown]
	v_mul_f64_e32 v[32:33], s[22:23], v[32:33]
	v_fma_f64 v[174:175], v[92:93], s[0:1], v[100:101]
	v_fma_f64 v[180:181], v[48:49], s[0:1], -v[106:107]
	v_fma_f64 v[100:101], v[92:93], s[0:1], -v[100:101]
	v_fma_f64 v[106:107], v[48:49], s[0:1], v[106:107]
	v_fma_f64 v[182:183], v[92:93], s[2:3], v[128:129]
	v_fma_f64 v[20:21], v[48:49], s[2:3], -v[134:135]
	v_fma_f64 v[128:129], v[92:93], s[2:3], -v[128:129]
	v_fma_f64 v[134:135], v[48:49], s[2:3], v[134:135]
	;; [unrolled: 4-line block ×4, first 2 shown]
	v_add_f64_e32 v[58:59], v[58:59], v[196:197]
	v_add_f64_e32 v[36:37], v[36:37], v[198:199]
	;; [unrolled: 1-line block ×7, first 2 shown]
	v_mul_f64_e32 v[164:165], s[20:21], v[66:67]
	v_add_f64_e32 v[176:177], v[176:177], v[178:179]
	v_add_f64_e32 v[94:95], v[94:95], v[146:147]
	;; [unrolled: 1-line block ×7, first 2 shown]
	v_fma_f64 v[178:179], v[40:41], s[2:3], v[120:121]
	v_add_f64_e32 v[64:65], v[64:65], v[116:117]
	v_add_f64_e32 v[116:117], v[150:151], v[136:137]
	;; [unrolled: 1-line block ×8, first 2 shown]
	v_fma_f64 v[120:121], v[40:41], s[2:3], -v[120:121]
	v_fma_f64 v[104:105], v[40:41], s[10:11], v[154:155]
	v_fma_f64 v[154:155], v[40:41], s[10:11], -v[154:155]
	v_fma_f64 v[132:133], v[40:41], s[8:9], v[156:157]
	;; [unrolled: 2-line block ×4, first 2 shown]
	v_fma_f64 v[30:31], v[40:41], s[0:1], -v[30:31]
	v_fma_f64 v[40:41], v[42:43], s[0:1], -v[32:33]
	v_fma_f64 v[32:33], v[42:43], s[0:1], v[32:33]
	v_mul_f64_e32 v[166:167], s[20:21], v[68:69]
	v_mul_f64_e32 v[168:169], s[22:23], v[66:67]
	;; [unrolled: 1-line block ×3, first 2 shown]
	v_add_f64_e32 v[56:57], v[56:57], v[58:59]
	v_add_f64_e32 v[36:37], v[48:49], v[36:37]
	v_mul_f64_e32 v[172:173], s[12:13], v[66:67]
	v_mul_f64_e32 v[62:63], s[12:13], v[68:69]
	;; [unrolled: 1-line block ×4, first 2 shown]
	v_fma_f64 v[152:153], v[42:43], s[4:5], v[162:163]
	v_add_f64_e32 v[100:101], v[100:101], v[102:103]
	v_add_f64_e32 v[102:103], v[184:185], v[186:187]
	v_fma_f64 v[60:61], v[42:43], s[2:3], -v[122:123]
	v_add_f64_e32 v[10:11], v[10:11], v[16:17]
	v_fma_f64 v[108:109], v[42:43], s[10:11], -v[38:39]
	v_add_f64_e32 v[8:9], v[8:9], v[14:15]
	v_add_f64_e32 v[14:15], v[138:139], v[24:25]
	;; [unrolled: 1-line block ×4, first 2 shown]
	v_fma_f64 v[38:39], v[42:43], s[10:11], v[38:39]
	v_fma_f64 v[144:145], v[42:43], s[8:9], v[158:159]
	v_add_f64_e32 v[46:47], v[180:181], v[46:47]
	v_add_f64_e32 v[34:35], v[106:107], v[34:35]
	;; [unrolled: 1-line block ×6, first 2 shown]
	v_fma_f64 v[122:123], v[42:43], s[2:3], v[122:123]
	v_fma_f64 v[136:137], v[42:43], s[8:9], -v[158:159]
	v_fma_f64 v[148:149], v[42:43], s[4:5], -v[162:163]
	v_fma_f64 v[42:43], v[96:97], s[4:5], v[164:165]
	v_fma_f64 v[160:161], v[96:97], s[4:5], -v[164:165]
	v_add_f64_e32 v[164:165], v[174:175], v[176:177]
	v_add_f64_e32 v[22:23], v[182:183], v[22:23]
	;; [unrolled: 1-line block ×7, first 2 shown]
	v_fma_f64 v[52:53], v[98:99], s[2:3], -v[126:127]
	v_fma_f64 v[54:55], v[96:97], s[2:3], -v[124:125]
	v_add_f64_e32 v[30:31], v[30:31], v[56:57]
	v_add_f64_e32 v[32:33], v[32:33], v[36:37]
	v_fma_f64 v[58:59], v[98:99], s[2:3], v[126:127]
	v_fma_f64 v[158:159], v[98:99], s[4:5], -v[166:167]
	v_fma_f64 v[126:127], v[96:97], s[10:11], v[66:67]
	v_fma_f64 v[128:129], v[98:99], s[10:11], -v[68:69]
	v_fma_f64 v[66:67], v[96:97], s[10:11], -v[66:67]
	v_fma_f64 v[68:69], v[98:99], s[10:11], v[68:69]
	v_fma_f64 v[162:163], v[98:99], s[4:5], v[166:167]
	;; [unrolled: 1-line block ×3, first 2 shown]
	v_add_f64_e32 v[36:37], v[6:7], v[10:11]
	v_fma_f64 v[94:95], v[98:99], s[0:1], -v[170:171]
	v_add_f64_e32 v[56:57], v[4:5], v[8:9]
	v_fma_f64 v[114:115], v[98:99], s[0:1], v[170:171]
	v_add_f64_e32 v[28:29], v[154:155], v[28:29]
	v_fma_f64 v[118:119], v[98:99], s[8:9], -v[62:63]
	v_fma_f64 v[124:125], v[96:97], s[8:9], -v[172:173]
	v_fma_f64 v[62:63], v[98:99], s[8:9], v[62:63]
	v_add_f64_e32 v[98:99], v[104:105], v[102:103]
	v_add_f64_e32 v[102:103], v[150:151], v[14:15]
	;; [unrolled: 1-line block ×3, first 2 shown]
	v_fma_f64 v[112:113], v[96:97], s[0:1], -v[168:169]
	v_add_f64_e32 v[46:47], v[60:61], v[46:47]
	v_add_f64_e32 v[60:61], v[120:121], v[100:101]
	v_add_f64_e32 v[100:101], v[108:109], v[106:107]
	v_add_f64_e32 v[38:39], v[38:39], v[64:65]
	v_add_f64_e32 v[64:65], v[140:141], v[110:111]
	v_add_f64_e32 v[106:107], v[144:145], v[24:25]
	v_add_f64_e32 v[34:35], v[122:123], v[34:35]
	v_fma_f64 v[92:93], v[96:97], s[0:1], v[168:169]
	v_fma_f64 v[116:117], v[96:97], s[8:9], v[172:173]
	v_add_f64_e32 v[96:97], v[178:179], v[164:165]
	v_add_f64_e32 v[108:109], v[132:133], v[22:23]
	;; [unrolled: 1-line block ×7, first 2 shown]
	v_add_co_u32 v74, vcc_lo, v12, v74
	s_wait_alu 0xfffd
	v_add_co_ci_u32_e32 v75, vcc_lo, v13, v75, vcc_lo
	v_add_co_u32 v76, vcc_lo, v12, v76
	s_wait_alu 0xfffd
	v_add_co_ci_u32_e32 v77, vcc_lo, v13, v77, vcc_lo
	v_add_f64_e32 v[26:27], v[68:69], v[32:33]
	v_add_f64_e32 v[2:3], v[2:3], v[36:37]
	;; [unrolled: 1-line block ×15, first 2 shown]
	v_add_co_u32 v46, vcc_lo, v12, v78
	v_add_f64_e32 v[6:7], v[42:43], v[96:97]
	v_add_f64_e32 v[36:37], v[92:93], v[108:109]
	;; [unrolled: 1-line block ×7, first 2 shown]
	s_wait_alu 0xfffd
	v_add_co_ci_u32_e32 v47, vcc_lo, v13, v79, vcc_lo
	v_add_co_u32 v48, vcc_lo, v12, v80
	s_wait_alu 0xfffd
	v_add_co_ci_u32_e32 v49, vcc_lo, v13, v81, vcc_lo
	v_add_co_u32 v50, vcc_lo, v12, v82
	;; [unrolled: 3-line block ×6, first 2 shown]
	s_wait_alu 0xfffd
	v_add_co_ci_u32_e32 v13, vcc_lo, v13, v91, vcc_lo
	s_clause 0xa
	global_store_b128 v[70:71], v[0:3], off
	global_store_b128 v[72:73], v[26:29], off
	;; [unrolled: 1-line block ×11, first 2 shown]
.LBB0_37:
	s_nop 0
	s_sendmsg sendmsg(MSG_DEALLOC_VGPRS)
	s_endpgm
	.section	.rodata,"a",@progbits
	.p2align	6, 0x0
	.amdhsa_kernel fft_rtc_back_len2002_factors_2_13_7_11_wgs_182_tpt_182_halfLds_dp_op_CI_CI_sbrr_dirReg
		.amdhsa_group_segment_fixed_size 0
		.amdhsa_private_segment_fixed_size 0
		.amdhsa_kernarg_size 104
		.amdhsa_user_sgpr_count 2
		.amdhsa_user_sgpr_dispatch_ptr 0
		.amdhsa_user_sgpr_queue_ptr 0
		.amdhsa_user_sgpr_kernarg_segment_ptr 1
		.amdhsa_user_sgpr_dispatch_id 0
		.amdhsa_user_sgpr_private_segment_size 0
		.amdhsa_wavefront_size32 1
		.amdhsa_uses_dynamic_stack 0
		.amdhsa_enable_private_segment 0
		.amdhsa_system_sgpr_workgroup_id_x 1
		.amdhsa_system_sgpr_workgroup_id_y 0
		.amdhsa_system_sgpr_workgroup_id_z 0
		.amdhsa_system_sgpr_workgroup_info 0
		.amdhsa_system_vgpr_workitem_id 0
		.amdhsa_next_free_vgpr 212
		.amdhsa_next_free_sgpr 48
		.amdhsa_reserve_vcc 1
		.amdhsa_float_round_mode_32 0
		.amdhsa_float_round_mode_16_64 0
		.amdhsa_float_denorm_mode_32 3
		.amdhsa_float_denorm_mode_16_64 3
		.amdhsa_fp16_overflow 0
		.amdhsa_workgroup_processor_mode 1
		.amdhsa_memory_ordered 1
		.amdhsa_forward_progress 0
		.amdhsa_round_robin_scheduling 0
		.amdhsa_exception_fp_ieee_invalid_op 0
		.amdhsa_exception_fp_denorm_src 0
		.amdhsa_exception_fp_ieee_div_zero 0
		.amdhsa_exception_fp_ieee_overflow 0
		.amdhsa_exception_fp_ieee_underflow 0
		.amdhsa_exception_fp_ieee_inexact 0
		.amdhsa_exception_int_div_zero 0
	.end_amdhsa_kernel
	.text
.Lfunc_end0:
	.size	fft_rtc_back_len2002_factors_2_13_7_11_wgs_182_tpt_182_halfLds_dp_op_CI_CI_sbrr_dirReg, .Lfunc_end0-fft_rtc_back_len2002_factors_2_13_7_11_wgs_182_tpt_182_halfLds_dp_op_CI_CI_sbrr_dirReg
                                        ; -- End function
	.section	.AMDGPU.csdata,"",@progbits
; Kernel info:
; codeLenInByte = 12696
; NumSgprs: 50
; NumVgprs: 212
; ScratchSize: 0
; MemoryBound: 1
; FloatMode: 240
; IeeeMode: 1
; LDSByteSize: 0 bytes/workgroup (compile time only)
; SGPRBlocks: 6
; VGPRBlocks: 26
; NumSGPRsForWavesPerEU: 50
; NumVGPRsForWavesPerEU: 212
; Occupancy: 7
; WaveLimiterHint : 1
; COMPUTE_PGM_RSRC2:SCRATCH_EN: 0
; COMPUTE_PGM_RSRC2:USER_SGPR: 2
; COMPUTE_PGM_RSRC2:TRAP_HANDLER: 0
; COMPUTE_PGM_RSRC2:TGID_X_EN: 1
; COMPUTE_PGM_RSRC2:TGID_Y_EN: 0
; COMPUTE_PGM_RSRC2:TGID_Z_EN: 0
; COMPUTE_PGM_RSRC2:TIDIG_COMP_CNT: 0
	.text
	.p2alignl 7, 3214868480
	.fill 96, 4, 3214868480
	.type	__hip_cuid_18e45755e3143aa9,@object ; @__hip_cuid_18e45755e3143aa9
	.section	.bss,"aw",@nobits
	.globl	__hip_cuid_18e45755e3143aa9
__hip_cuid_18e45755e3143aa9:
	.byte	0                               ; 0x0
	.size	__hip_cuid_18e45755e3143aa9, 1

	.ident	"AMD clang version 19.0.0git (https://github.com/RadeonOpenCompute/llvm-project roc-6.4.0 25133 c7fe45cf4b819c5991fe208aaa96edf142730f1d)"
	.section	".note.GNU-stack","",@progbits
	.addrsig
	.addrsig_sym __hip_cuid_18e45755e3143aa9
	.amdgpu_metadata
---
amdhsa.kernels:
  - .args:
      - .actual_access:  read_only
        .address_space:  global
        .offset:         0
        .size:           8
        .value_kind:     global_buffer
      - .offset:         8
        .size:           8
        .value_kind:     by_value
      - .actual_access:  read_only
        .address_space:  global
        .offset:         16
        .size:           8
        .value_kind:     global_buffer
      - .actual_access:  read_only
        .address_space:  global
        .offset:         24
        .size:           8
        .value_kind:     global_buffer
      - .actual_access:  read_only
        .address_space:  global
        .offset:         32
        .size:           8
        .value_kind:     global_buffer
      - .offset:         40
        .size:           8
        .value_kind:     by_value
      - .actual_access:  read_only
        .address_space:  global
        .offset:         48
        .size:           8
        .value_kind:     global_buffer
      - .actual_access:  read_only
        .address_space:  global
        .offset:         56
        .size:           8
        .value_kind:     global_buffer
      - .offset:         64
        .size:           4
        .value_kind:     by_value
      - .actual_access:  read_only
        .address_space:  global
        .offset:         72
        .size:           8
        .value_kind:     global_buffer
      - .actual_access:  read_only
        .address_space:  global
        .offset:         80
        .size:           8
        .value_kind:     global_buffer
      - .actual_access:  read_only
        .address_space:  global
        .offset:         88
        .size:           8
        .value_kind:     global_buffer
      - .actual_access:  write_only
        .address_space:  global
        .offset:         96
        .size:           8
        .value_kind:     global_buffer
    .group_segment_fixed_size: 0
    .kernarg_segment_align: 8
    .kernarg_segment_size: 104
    .language:       OpenCL C
    .language_version:
      - 2
      - 0
    .max_flat_workgroup_size: 182
    .name:           fft_rtc_back_len2002_factors_2_13_7_11_wgs_182_tpt_182_halfLds_dp_op_CI_CI_sbrr_dirReg
    .private_segment_fixed_size: 0
    .sgpr_count:     50
    .sgpr_spill_count: 0
    .symbol:         fft_rtc_back_len2002_factors_2_13_7_11_wgs_182_tpt_182_halfLds_dp_op_CI_CI_sbrr_dirReg.kd
    .uniform_work_group_size: 1
    .uses_dynamic_stack: false
    .vgpr_count:     212
    .vgpr_spill_count: 0
    .wavefront_size: 32
    .workgroup_processor_mode: 1
amdhsa.target:   amdgcn-amd-amdhsa--gfx1201
amdhsa.version:
  - 1
  - 2
...

	.end_amdgpu_metadata
